;; amdgpu-corpus repo=zjin-lcf/HeCBench kind=compiled arch=gfx906 opt=O3
	.amdgcn_target "amdgcn-amd-amdhsa--gfx906"
	.amdhsa_code_object_version 6
	.text
	.protected	_Z30ker_zmddft_fwd_256x256x256_cu0PKdPd ; -- Begin function _Z30ker_zmddft_fwd_256x256x256_cu0PKdPd
	.globl	_Z30ker_zmddft_fwd_256x256x256_cu0PKdPd
	.p2align	8
	.type	_Z30ker_zmddft_fwd_256x256x256_cu0PKdPd,@function
_Z30ker_zmddft_fwd_256x256x256_cu0PKdPd: ; @_Z30ker_zmddft_fwd_256x256x256_cu0PKdPd
; %bb.0:
	s_mov_b64 s[18:19], s[2:3]
	v_mov_b32_e32 v63, v0
	s_mov_b64 s[16:17], s[0:1]
	v_lshlrev_b32_e32 v0, 5, v63
	s_add_u32 s16, s16, s7
	v_and_b32_e32 v0, 0x7e00, v0
	s_addc_u32 s17, s17, 0
	s_load_dwordx4 s[0:3], s[4:5], 0x0
	v_and_b32_e32 v1, 15, v63
	v_lshl_add_u32 v0, s6, 11, v0
	buffer_store_dword v1, off, s[16:19], 0 ; 4-byte Folded Spill
	v_lshl_or_b32 v1, v1, 1, v0
	v_ashrrev_i32_e32 v2, 31, v1
	v_lshlrev_b64 v[1:2], 3, v[1:2]
	s_waitcnt lgkmcnt(0)
	v_mov_b32_e32 v0, s1
	v_add_co_u32_e32 v37, vcc, s0, v1
	v_addc_co_u32_e32 v38, vcc, v0, v2, vcc
	global_load_dwordx4 v[1:4], v[37:38], off
	global_load_dwordx4 v[5:8], v[37:38], off offset:2048
	s_mov_b32 s0, 0x667f3bcd
	s_mov_b32 s1, 0x3fe6a09e
	;; [unrolled: 1-line block ×8, first 2 shown]
	s_getpc_b64 s[12:13]
	s_add_u32 s12, s12, _ZL2D3@rel32@lo+4
	s_addc_u32 s13, s13, _ZL2D3@rel32@hi+12
	s_waitcnt vmcnt(0)
	v_add_f64 v[9:10], v[1:2], v[5:6]
	v_add_f64 v[11:12], v[3:4], v[7:8]
	v_add_f64 v[13:14], v[1:2], -v[5:6]
	v_add_f64 v[15:16], v[3:4], -v[7:8]
	global_load_dwordx4 v[1:4], v[37:38], off offset:1024
	global_load_dwordx4 v[5:8], v[37:38], off offset:3072
	s_waitcnt vmcnt(0)
	v_add_f64 v[17:18], v[1:2], v[5:6]
	v_add_f64 v[19:20], v[3:4], v[7:8]
	v_add_f64 v[25:26], v[1:2], -v[5:6]
	v_add_f64 v[1:2], v[3:4], -v[7:8]
	;; [unrolled: 1-line block ×3, first 2 shown]
	buffer_store_dword v3, off, s[16:19], 0 offset:20 ; 4-byte Folded Spill
	s_nop 0
	buffer_store_dword v4, off, s[16:19], 0 offset:24 ; 4-byte Folded Spill
	v_add_f64 v[3:4], v[11:12], -v[19:20]
	v_add_f64 v[21:22], v[13:14], v[1:2]
	v_add_f64 v[0:1], v[13:14], -v[1:2]
	buffer_store_dword v3, off, s[16:19], 0 offset:28 ; 4-byte Folded Spill
	s_nop 0
	buffer_store_dword v4, off, s[16:19], 0 offset:32 ; 4-byte Folded Spill
	buffer_store_dword v0, off, s[16:19], 0 offset:4 ; 4-byte Folded Spill
	s_nop 0
	buffer_store_dword v1, off, s[16:19], 0 offset:8 ; 4-byte Folded Spill
	v_add_f64 v[0:1], v[15:16], v[25:26]
	buffer_store_dword v0, off, s[16:19], 0 offset:12 ; 4-byte Folded Spill
	s_nop 0
	buffer_store_dword v1, off, s[16:19], 0 offset:16 ; 4-byte Folded Spill
	v_add_f64 v[33:34], v[9:10], v[17:18]
	v_add_f64 v[35:36], v[11:12], v[19:20]
	v_add_f64 v[23:24], v[15:16], -v[25:26]
	global_load_dwordx4 v[9:12], v[37:38], off offset:256
	global_load_dwordx4 v[13:16], v[37:38], off offset:2304
	s_waitcnt vmcnt(0)
	v_add_f64 v[17:18], v[9:10], v[13:14]
	v_add_f64 v[19:20], v[11:12], v[15:16]
	v_add_f64 v[25:26], v[9:10], -v[13:14]
	v_add_f64 v[27:28], v[11:12], -v[15:16]
	global_load_dwordx4 v[9:12], v[37:38], off offset:1280
	global_load_dwordx4 v[13:16], v[37:38], off offset:3328
	s_waitcnt vmcnt(0)
	v_add_f64 v[29:30], v[9:10], v[13:14]
	v_add_f64 v[31:32], v[11:12], v[15:16]
	v_add_f64 v[9:10], v[9:10], -v[13:14]
	v_add_f64 v[11:12], v[11:12], -v[15:16]
	;; [unrolled: 1-line block ×3, first 2 shown]
	v_add_f64 v[41:42], v[17:18], v[29:30]
	v_add_f64 v[17:18], v[19:20], -v[31:32]
	v_add_f64 v[43:44], v[19:20], v[31:32]
	v_add_f64 v[19:20], v[27:28], -v[9:10]
	v_add_f64 v[9:10], v[27:28], v[9:10]
	v_mul_f64 v[13:14], v[13:14], s[0:1]
	v_fma_f64 v[15:16], v[17:18], s[0:1], v[13:14]
	v_fma_f64 v[13:14], v[17:18], s[0:1], -v[13:14]
	v_add_f64 v[17:18], v[25:26], v[11:12]
	v_add_f64 v[25:26], v[25:26], -v[11:12]
	v_mul_f64 v[11:12], v[17:18], s[4:5]
	v_fma_f64 v[29:30], v[19:20], s[8:9], v[11:12]
	v_mul_f64 v[11:12], v[17:18], s[8:9]
	v_mul_f64 v[17:18], v[25:26], s[4:5]
	v_fma_f64 v[31:32], v[19:20], s[4:5], -v[11:12]
	v_mul_f64 v[11:12], v[25:26], s[8:9]
	v_fma_f64 v[11:12], v[9:10], s[4:5], v[11:12]
	v_fma_f64 v[9:10], v[9:10], s[8:9], -v[17:18]
	global_load_dwordx4 v[17:20], v[37:38], off offset:512
	global_load_dwordx4 v[25:28], v[37:38], off offset:2560
	s_waitcnt vmcnt(0)
	v_add_f64 v[39:40], v[17:18], v[25:26]
	v_add_f64 v[45:46], v[19:20], v[27:28]
	v_add_f64 v[49:50], v[17:18], -v[25:26]
	v_add_f64 v[51:52], v[19:20], -v[27:28]
	global_load_dwordx4 v[17:20], v[37:38], off offset:1536
	global_load_dwordx4 v[25:28], v[37:38], off offset:3584
	s_waitcnt vmcnt(0)
	v_add_f64 v[47:48], v[17:18], v[25:26]
	v_add_f64 v[57:58], v[19:20], v[27:28]
	v_add_f64 v[19:20], v[19:20], -v[27:28]
	v_add_f64 v[17:18], v[17:18], -v[25:26]
	v_add_f64 v[53:54], v[39:40], v[47:48]
	v_add_f64 v[25:26], v[39:40], -v[47:48]
	v_add_f64 v[39:40], v[49:50], v[19:20]
	;; [unrolled: 2-line block ×3, first 2 shown]
	v_add_f64 v[27:28], v[45:46], -v[57:58]
	v_mul_f64 v[39:40], v[39:40], s[0:1]
	v_fma_f64 v[45:46], v[47:48], s[0:1], v[39:40]
	v_fma_f64 v[47:48], v[47:48], s[0:1], -v[39:40]
	v_add_f64 v[39:40], v[51:52], v[17:18]
	v_add_f64 v[17:18], v[49:50], -v[19:20]
	global_load_dwordx4 v[49:52], v[37:38], off offset:768
	global_load_dwordx4 v[57:60], v[37:38], off offset:2816
	v_mul_f64 v[19:20], v[17:18], s[0:1]
	v_fma_f64 v[17:18], v[39:40], s[0:1], -v[19:20]
	v_fma_f64 v[19:20], v[39:40], s[0:1], v[19:20]
	s_waitcnt vmcnt(0)
	v_add_f64 v[61:62], v[49:50], v[57:58]
	v_add_f64 v[4:5], v[51:52], v[59:60]
	v_add_f64 v[57:58], v[49:50], -v[57:58]
	v_add_f64 v[59:60], v[51:52], -v[59:60]
	global_load_dwordx4 v[49:52], v[37:38], off offset:1792
	s_nop 0
	global_load_dwordx4 v[37:40], v[37:38], off offset:3840
	s_waitcnt vmcnt(0)
	v_add_f64 v[0:1], v[51:52], v[39:40]
	v_add_f64 v[2:3], v[49:50], v[37:38]
	v_add_f64 v[39:40], v[51:52], -v[39:40]
	v_add_f64 v[37:38], v[49:50], -v[37:38]
	v_add_f64 v[51:52], v[4:5], v[0:1]
	v_add_f64 v[0:1], v[4:5], -v[0:1]
	v_add_f64 v[4:5], v[61:62], -v[2:3]
	v_add_f64 v[49:50], v[61:62], v[2:3]
	v_add_f64 v[61:62], v[59:60], -v[37:38]
	v_add_f64 v[37:38], v[59:60], v[37:38]
	v_mul_f64 v[0:1], v[0:1], s[0:1]
	v_fma_f64 v[2:3], v[4:5], s[10:11], v[0:1]
	v_fma_f64 v[6:7], v[4:5], s[0:1], v[0:1]
	v_add_f64 v[4:5], v[57:58], v[39:40]
	v_add_f64 v[39:40], v[57:58], -v[39:40]
	v_add_f64 v[0:1], v[43:44], v[51:52]
	v_add_f64 v[51:52], v[43:44], -v[51:52]
	v_mul_f64 v[57:58], v[4:5], s[8:9]
	v_mul_f64 v[4:5], v[4:5], s[4:5]
	v_fma_f64 v[57:58], v[61:62], s[4:5], v[57:58]
	v_fma_f64 v[59:60], v[61:62], s[8:9], -v[4:5]
	v_mul_f64 v[4:5], v[39:40], s[4:5]
	v_fma_f64 v[61:62], v[37:38], s[8:9], v[4:5]
	v_mul_f64 v[4:5], v[37:38], s[4:5]
	v_fma_f64 v[37:38], v[39:40], s[8:9], -v[4:5]
	v_add_f64 v[4:5], v[33:34], v[53:54]
	v_add_f64 v[39:40], v[35:36], v[55:56]
	v_add_f64 v[53:54], v[33:34], -v[53:54]
	v_add_f64 v[34:35], v[35:36], -v[55:56]
	v_add_f64 v[55:56], v[41:42], v[49:50]
	v_add_f64 v[49:50], v[41:42], -v[49:50]
	v_lshlrev_b32_e32 v33, 8, v63
	v_add_f64 v[43:44], v[39:40], v[0:1]
	v_add_f64 v[41:42], v[4:5], v[55:56]
	ds_write_b128 v33, v[41:44]
	v_add_f64 v[41:42], v[4:5], -v[55:56]
	v_add_f64 v[43:44], v[39:40], -v[0:1]
	v_add_f64 v[0:1], v[21:22], v[45:46]
	v_add_f64 v[4:5], v[23:24], v[47:48]
	;; [unrolled: 1-line block ×3, first 2 shown]
	v_add_f64 v[21:22], v[21:22], -v[45:46]
	v_add_f64 v[23:24], v[23:24], -v[47:48]
	ds_write_b128 v33, v[41:44] offset:128
	v_add_f64 v[41:42], v[53:54], v[51:52]
	v_add_f64 v[43:44], v[34:35], -v[49:50]
	ds_write_b128 v33, v[41:44] offset:64
	v_add_f64 v[41:42], v[53:54], -v[51:52]
	v_add_f64 v[43:44], v[34:35], v[49:50]
	v_add_f64 v[34:35], v[29:30], v[57:58]
	ds_write_b128 v33, v[41:44] offset:192
	v_add_f64 v[41:42], v[29:30], -v[57:58]
	v_add_f64 v[43:44], v[31:32], -v[59:60]
	v_add_f64 v[29:30], v[0:1], v[34:35]
	v_add_f64 v[31:32], v[4:5], v[39:40]
	ds_write_b128 v33, v[29:32] offset:16
	v_add_f64 v[29:30], v[0:1], -v[34:35]
	v_add_f64 v[31:32], v[4:5], -v[39:40]
	ds_write_b128 v33, v[29:32] offset:144
	v_add_f64 v[29:30], v[21:22], v[43:44]
	v_add_f64 v[31:32], v[23:24], -v[41:42]
	v_add_f64 v[21:22], v[21:22], -v[43:44]
	v_add_f64 v[23:24], v[23:24], v[41:42]
	ds_write_b128 v33, v[29:32] offset:80
	ds_write_b128 v33, v[21:24] offset:208
	buffer_load_dword v4, off, s[16:19], 0 offset:20 ; 4-byte Folded Reload
	buffer_load_dword v5, off, s[16:19], 0 offset:24 ; 4-byte Folded Reload
	;; [unrolled: 1-line block ×4, first 2 shown]
	s_waitcnt vmcnt(2)
	v_add_f64 v[0:1], v[4:5], v[27:28]
	s_waitcnt vmcnt(0)
	v_add_f64 v[21:22], v[29:30], -v[25:26]
	v_add_f64 v[23:24], v[4:5], -v[27:28]
	v_add_f64 v[25:26], v[29:30], v[25:26]
	v_add_f64 v[27:28], v[15:16], v[2:3]
	v_add_f64 v[29:30], v[13:14], -v[6:7]
	v_add_f64 v[13:14], v[13:14], v[6:7]
	v_add_f64 v[2:3], v[15:16], -v[2:3]
	v_add_f64 v[5:6], v[0:1], v[27:28]
	v_add_f64 v[7:8], v[21:22], v[29:30]
	ds_write_b128 v33, v[5:8] offset:32
	v_add_f64 v[5:6], v[0:1], -v[27:28]
	v_add_f64 v[7:8], v[21:22], -v[29:30]
	ds_write_b128 v33, v[5:8] offset:160
	v_add_f64 v[5:6], v[23:24], v[13:14]
	v_add_f64 v[7:8], v[25:26], -v[2:3]
	ds_write_b128 v33, v[5:8] offset:96
	v_add_f64 v[5:6], v[23:24], -v[13:14]
	v_add_f64 v[7:8], v[25:26], v[2:3]
	ds_write_b128 v33, v[5:8] offset:224
	buffer_load_dword v0, off, s[16:19], 0 offset:4 ; 4-byte Folded Reload
	buffer_load_dword v1, off, s[16:19], 0 offset:8 ; 4-byte Folded Reload
	;; [unrolled: 1-line block ×4, first 2 shown]
	s_waitcnt vmcnt(2)
	v_add_f64 v[5:6], v[0:1], v[17:18]
	s_waitcnt vmcnt(0)
	v_add_f64 v[7:8], v[2:3], -v[19:20]
	v_add_f64 v[13:14], v[0:1], -v[17:18]
	v_add_f64 v[15:16], v[2:3], v[19:20]
	v_add_f64 v[17:18], v[11:12], -v[61:62]
	v_add_f64 v[19:20], v[9:10], v[37:38]
	v_add_f64 v[11:12], v[11:12], v[61:62]
	v_add_f64 v[9:10], v[9:10], -v[37:38]
	v_add_f64 v[1:2], v[5:6], v[17:18]
	v_add_f64 v[3:4], v[7:8], v[19:20]
	ds_write_b128 v33, v[1:4] offset:48
	v_add_f64 v[1:2], v[5:6], -v[17:18]
	v_add_f64 v[3:4], v[7:8], -v[19:20]
	ds_write_b128 v33, v[1:4] offset:176
	v_add_f64 v[1:2], v[13:14], v[9:10]
	v_add_f64 v[3:4], v[15:16], -v[11:12]
	ds_write_b128 v33, v[1:4] offset:112
	v_add_f64 v[1:2], v[13:14], -v[9:10]
	v_add_f64 v[3:4], v[15:16], v[11:12]
	ds_write_b128 v33, v[1:4] offset:240
	s_waitcnt lgkmcnt(0)
	s_barrier
	buffer_load_dword v8, off, s[16:19], 0  ; 4-byte Folded Reload
	v_lshrrev_b32_e32 v1, 4, v63
	buffer_store_dword v1, off, s[16:19], 0 offset:60 ; 4-byte Folded Spill
	s_waitcnt vmcnt(1)
	v_lshlrev_b32_e32 v0, 4, v8
	v_lshl_or_b32 v40, v1, 12, v0
	v_lshlrev_b32_e32 v56, 8, v8
	ds_read_b128 v[0:3], v40
	ds_read_b128 v[4:7], v40 offset:2048
	global_load_dwordx4 v[11:14], v56, s[12:13] offset:48
	global_load_dwordx4 v[15:18], v56, s[12:13] offset:32
	;; [unrolled: 1-line block ×3, first 2 shown]
	global_load_dwordx4 v[23:26], v56, s[12:13]
	s_getpc_b64 s[12:13]
	s_add_u32 s12, s12, _ZL2D3@rel32@lo+68
	s_addc_u32 s13, s13, _ZL2D3@rel32@hi+76
	s_waitcnt vmcnt(0) lgkmcnt(1)
	v_mul_f64 v[8:9], v[2:3], v[25:26]
	v_fma_f64 v[8:9], v[0:1], v[23:24], -v[8:9]
	v_mul_f64 v[0:1], v[0:1], v[25:26]
	v_fma_f64 v[0:1], v[2:3], v[23:24], v[0:1]
	s_waitcnt lgkmcnt(0)
	v_mul_f64 v[2:3], v[6:7], v[21:22]
	v_fma_f64 v[2:3], v[4:5], v[19:20], -v[2:3]
	v_mul_f64 v[4:5], v[4:5], v[21:22]
	v_add_f64 v[22:23], v[8:9], v[2:3]
	v_fma_f64 v[4:5], v[6:7], v[19:20], v[4:5]
	v_add_f64 v[8:9], v[8:9], -v[2:3]
	v_add_f64 v[24:25], v[0:1], v[4:5]
	v_add_f64 v[26:27], v[0:1], -v[4:5]
	ds_read_b128 v[0:3], v40 offset:1024
	ds_read_b128 v[4:7], v40 offset:3072
	s_waitcnt lgkmcnt(1)
	v_mul_f64 v[19:20], v[2:3], v[17:18]
	v_fma_f64 v[19:20], v[0:1], v[15:16], -v[19:20]
	v_mul_f64 v[0:1], v[0:1], v[17:18]
	v_fma_f64 v[0:1], v[2:3], v[15:16], v[0:1]
	s_waitcnt lgkmcnt(0)
	v_mul_f64 v[2:3], v[6:7], v[13:14]
	v_fma_f64 v[2:3], v[4:5], v[11:12], -v[2:3]
	v_mul_f64 v[4:5], v[4:5], v[13:14]
	v_fma_f64 v[4:5], v[6:7], v[11:12], v[4:5]
	v_add_f64 v[6:7], v[19:20], v[2:3]
	v_add_f64 v[2:3], v[19:20], -v[2:3]
	v_add_f64 v[10:11], v[0:1], v[4:5]
	v_add_f64 v[0:1], v[0:1], -v[4:5]
	v_add_f64 v[4:5], v[22:23], -v[6:7]
	buffer_store_dword v4, off, s[16:19], 0 offset:20 ; 4-byte Folded Spill
	s_nop 0
	buffer_store_dword v5, off, s[16:19], 0 offset:24 ; 4-byte Folded Spill
	v_add_f64 v[4:5], v[24:25], -v[10:11]
	buffer_store_dword v4, off, s[16:19], 0 offset:28 ; 4-byte Folded Spill
	s_nop 0
	buffer_store_dword v5, off, s[16:19], 0 offset:32 ; 4-byte Folded Spill
	v_add_f64 v[4:5], v[8:9], v[0:1]
	v_add_f64 v[0:1], v[8:9], -v[0:1]
	buffer_store_dword v4, off, s[16:19], 0 offset:52 ; 4-byte Folded Spill
	s_nop 0
	buffer_store_dword v5, off, s[16:19], 0 offset:56 ; 4-byte Folded Spill
	buffer_store_dword v0, off, s[16:19], 0 offset:4 ; 4-byte Folded Spill
	s_nop 0
	buffer_store_dword v1, off, s[16:19], 0 offset:8 ; 4-byte Folded Spill
	v_add_f64 v[0:1], v[26:27], v[2:3]
	buffer_store_dword v0, off, s[16:19], 0 offset:12 ; 4-byte Folded Spill
	s_nop 0
	buffer_store_dword v1, off, s[16:19], 0 offset:16 ; 4-byte Folded Spill
	v_add_f64 v[20:21], v[22:23], v[6:7]
	v_add_f64 v[42:43], v[24:25], v[10:11]
	v_add_f64 v[22:23], v[26:27], -v[2:3]
	ds_read_b128 v[4:7], v40 offset:256
	ds_read_b128 v[0:3], v40 offset:2304
	global_load_dwordx4 v[16:19], v56, s[12:13] offset:48
	global_load_dwordx4 v[24:27], v56, s[12:13] offset:32
	;; [unrolled: 1-line block ×3, first 2 shown]
	global_load_dwordx4 v[32:35], v56, s[12:13]
	s_getpc_b64 s[12:13]
	s_add_u32 s12, s12, _ZL2D3@rel32@lo+132
	s_addc_u32 s13, s13, _ZL2D3@rel32@hi+140
	s_waitcnt vmcnt(0) lgkmcnt(1)
	v_mul_f64 v[8:9], v[6:7], v[34:35]
	v_fma_f64 v[8:9], v[4:5], v[32:33], -v[8:9]
	v_mul_f64 v[4:5], v[4:5], v[34:35]
	v_fma_f64 v[4:5], v[6:7], v[32:33], v[4:5]
	s_waitcnt lgkmcnt(0)
	v_mul_f64 v[6:7], v[2:3], v[30:31]
	v_fma_f64 v[6:7], v[0:1], v[28:29], -v[6:7]
	v_mul_f64 v[0:1], v[0:1], v[30:31]
	v_add_f64 v[10:11], v[8:9], v[6:7]
	v_fma_f64 v[0:1], v[2:3], v[28:29], v[0:1]
	v_add_f64 v[8:9], v[8:9], -v[6:7]
	v_add_f64 v[12:13], v[4:5], v[0:1]
	v_add_f64 v[14:15], v[4:5], -v[0:1]
	ds_read_b128 v[0:3], v40 offset:1280
	ds_read_b128 v[4:7], v40 offset:3328
	s_waitcnt lgkmcnt(1)
	v_mul_f64 v[28:29], v[2:3], v[26:27]
	v_fma_f64 v[28:29], v[0:1], v[24:25], -v[28:29]
	v_mul_f64 v[0:1], v[0:1], v[26:27]
	v_fma_f64 v[0:1], v[2:3], v[24:25], v[0:1]
	s_waitcnt lgkmcnt(0)
	v_mul_f64 v[2:3], v[6:7], v[18:19]
	v_fma_f64 v[2:3], v[4:5], v[16:17], -v[2:3]
	v_mul_f64 v[4:5], v[4:5], v[18:19]
	v_fma_f64 v[4:5], v[6:7], v[16:17], v[4:5]
	v_add_f64 v[6:7], v[28:29], v[2:3]
	v_add_f64 v[2:3], v[28:29], -v[2:3]
	v_add_f64 v[16:17], v[0:1], v[4:5]
	v_add_f64 v[0:1], v[0:1], -v[4:5]
	v_add_f64 v[4:5], v[10:11], -v[6:7]
	v_add_f64 v[48:49], v[10:11], v[6:7]
	v_add_f64 v[6:7], v[12:13], -v[16:17]
	v_add_f64 v[50:51], v[12:13], v[16:17]
	v_mul_f64 v[4:5], v[4:5], s[0:1]
	v_fma_f64 v[24:25], v[6:7], s[0:1], v[4:5]
	v_fma_f64 v[26:27], v[6:7], s[0:1], -v[4:5]
	v_add_f64 v[6:7], v[14:15], -v[2:3]
	v_add_f64 v[4:5], v[8:9], v[0:1]
	v_add_f64 v[0:1], v[8:9], -v[0:1]
	v_add_f64 v[2:3], v[14:15], v[2:3]
	v_mul_f64 v[8:9], v[6:7], s[8:9]
	v_fma_f64 v[28:29], v[4:5], s[4:5], v[8:9]
	v_mul_f64 v[4:5], v[4:5], s[8:9]
	v_fma_f64 v[30:31], v[6:7], s[4:5], -v[4:5]
	v_mul_f64 v[4:5], v[2:3], s[4:5]
	v_fma_f64 v[4:5], v[0:1], s[8:9], v[4:5]
	v_mul_f64 v[0:1], v[0:1], s[4:5]
	buffer_store_dword v4, off, s[16:19], 0 offset:36 ; 4-byte Folded Spill
	s_nop 0
	buffer_store_dword v5, off, s[16:19], 0 offset:40 ; 4-byte Folded Spill
	v_fma_f64 v[0:1], v[2:3], s[8:9], -v[0:1]
	buffer_store_dword v0, off, s[16:19], 0 offset:44 ; 4-byte Folded Spill
	s_nop 0
	buffer_store_dword v1, off, s[16:19], 0 offset:48 ; 4-byte Folded Spill
	ds_read_b128 v[4:7], v40 offset:512
	ds_read_b128 v[0:3], v40 offset:2560
	global_load_dwordx4 v[32:35], v56, s[12:13] offset:48
	global_load_dwordx4 v[36:39], v56, s[12:13] offset:32
	;; [unrolled: 1-line block ×3, first 2 shown]
	global_load_dwordx4 v[52:55], v56, s[12:13]
	s_getpc_b64 s[12:13]
	s_add_u32 s12, s12, _ZL2D3@rel32@lo+196
	s_addc_u32 s13, s13, _ZL2D3@rel32@hi+204
	s_waitcnt vmcnt(0) lgkmcnt(1)
	v_mul_f64 v[8:9], v[6:7], v[54:55]
	v_fma_f64 v[8:9], v[4:5], v[52:53], -v[8:9]
	v_mul_f64 v[4:5], v[4:5], v[54:55]
	v_fma_f64 v[4:5], v[6:7], v[52:53], v[4:5]
	s_waitcnt lgkmcnt(0)
	v_mul_f64 v[6:7], v[2:3], v[46:47]
	v_fma_f64 v[6:7], v[0:1], v[44:45], -v[6:7]
	v_mul_f64 v[0:1], v[0:1], v[46:47]
	v_add_f64 v[10:11], v[8:9], v[6:7]
	v_fma_f64 v[0:1], v[2:3], v[44:45], v[0:1]
	v_add_f64 v[8:9], v[8:9], -v[6:7]
	v_add_f64 v[12:13], v[4:5], v[0:1]
	v_add_f64 v[14:15], v[4:5], -v[0:1]
	ds_read_b128 v[0:3], v40 offset:1536
	ds_read_b128 v[4:7], v40 offset:3584
	s_waitcnt lgkmcnt(1)
	v_mul_f64 v[16:17], v[2:3], v[38:39]
	v_fma_f64 v[16:17], v[0:1], v[36:37], -v[16:17]
	v_mul_f64 v[0:1], v[0:1], v[38:39]
	v_fma_f64 v[0:1], v[2:3], v[36:37], v[0:1]
	s_waitcnt lgkmcnt(0)
	v_mul_f64 v[2:3], v[6:7], v[34:35]
	v_fma_f64 v[2:3], v[4:5], v[32:33], -v[2:3]
	v_mul_f64 v[4:5], v[4:5], v[34:35]
	v_fma_f64 v[4:5], v[6:7], v[32:33], v[4:5]
	v_add_f64 v[6:7], v[16:17], v[2:3]
	v_add_f64 v[2:3], v[16:17], -v[2:3]
	v_add_f64 v[18:19], v[0:1], v[4:5]
	v_add_f64 v[0:1], v[0:1], -v[4:5]
	;; [unrolled: 2-line block ×3, first 2 shown]
	v_add_f64 v[6:7], v[14:15], -v[2:3]
	v_add_f64 v[2:3], v[14:15], v[2:3]
	v_add_f64 v[60:61], v[12:13], v[18:19]
	;; [unrolled: 1-line block ×3, first 2 shown]
	v_add_f64 v[0:1], v[8:9], -v[0:1]
	v_add_f64 v[38:39], v[12:13], -v[18:19]
	ds_read_b128 v[52:55], v40 offset:768
	ds_read_b128 v[8:11], v40 offset:2816
	v_mul_f64 v[2:3], v[2:3], s[0:1]
	v_mul_f64 v[4:5], v[4:5], s[0:1]
	v_fma_f64 v[32:33], v[0:1], s[10:11], v[2:3]
	v_fma_f64 v[34:35], v[0:1], s[0:1], v[2:3]
	;; [unrolled: 1-line block ×3, first 2 shown]
	v_fma_f64 v[46:47], v[6:7], s[0:1], -v[4:5]
	global_load_dwordx4 v[16:19], v56, s[12:13] offset:48
	global_load_dwordx4 v[12:15], v56, s[12:13] offset:32
	;; [unrolled: 1-line block ×3, first 2 shown]
	global_load_dwordx4 v[0:3], v56, s[12:13]
	s_waitcnt vmcnt(0) lgkmcnt(1)
	v_mul_f64 v[56:57], v[54:55], v[2:3]
	v_mul_f64 v[2:3], v[52:53], v[2:3]
	v_fma_f64 v[56:57], v[52:53], v[0:1], -v[56:57]
	v_fma_f64 v[0:1], v[54:55], v[0:1], v[2:3]
	s_waitcnt lgkmcnt(0)
	v_mul_f64 v[2:3], v[10:11], v[6:7]
	v_mul_f64 v[6:7], v[8:9], v[6:7]
	v_fma_f64 v[2:3], v[8:9], v[4:5], -v[2:3]
	v_fma_f64 v[4:5], v[10:11], v[4:5], v[6:7]
	v_add_f64 v[52:53], v[56:57], v[2:3]
	v_add_f64 v[62:63], v[0:1], v[4:5]
	v_add_f64 v[54:55], v[56:57], -v[2:3]
	v_add_f64 v[56:57], v[0:1], -v[4:5]
	ds_read_b128 v[0:3], v40 offset:1792
	ds_read_b128 v[4:7], v40 offset:3840
	v_add_f64 v[40:41], v[20:21], -v[58:59]
	s_waitcnt lgkmcnt(1)
	v_mul_f64 v[8:9], v[2:3], v[14:15]
	v_fma_f64 v[8:9], v[0:1], v[12:13], -v[8:9]
	v_mul_f64 v[0:1], v[0:1], v[14:15]
	v_fma_f64 v[0:1], v[2:3], v[12:13], v[0:1]
	s_waitcnt lgkmcnt(0)
	v_mul_f64 v[2:3], v[6:7], v[18:19]
	v_fma_f64 v[2:3], v[4:5], v[16:17], -v[2:3]
	v_mul_f64 v[4:5], v[4:5], v[18:19]
	v_add_f64 v[18:19], v[22:23], -v[46:47]
	v_fma_f64 v[4:5], v[6:7], v[16:17], v[4:5]
	v_add_f64 v[6:7], v[8:9], v[2:3]
	v_add_f64 v[2:3], v[8:9], -v[2:3]
	v_add_f64 v[10:11], v[0:1], v[4:5]
	v_add_f64 v[0:1], v[0:1], -v[4:5]
	v_add_f64 v[4:5], v[52:53], v[6:7]
	v_add_f64 v[12:13], v[62:63], v[10:11]
	v_add_f64 v[8:9], v[62:63], -v[10:11]
	v_add_f64 v[62:63], v[20:21], v[58:59]
	v_add_f64 v[58:59], v[48:49], v[4:5]
	v_add_f64 v[48:49], v[48:49], -v[4:5]
	buffer_load_dword v4, off, s[16:19], 0  ; 4-byte Folded Reload
	buffer_load_dword v5, off, s[16:19], 0 offset:60 ; 4-byte Folded Reload
	v_add_f64 v[10:11], v[52:53], -v[6:7]
	v_mul_f64 v[8:9], v[8:9], s[0:1]
	v_fma_f64 v[6:7], v[10:11], s[10:11], v[8:9]
	v_fma_f64 v[52:53], v[10:11], s[0:1], v[8:9]
	v_add_f64 v[10:11], v[56:57], -v[2:3]
	v_add_f64 v[8:9], v[54:55], v[0:1]
	v_add_f64 v[0:1], v[54:55], -v[0:1]
	v_add_f64 v[2:3], v[56:57], v[2:3]
	s_lshl_b32 s0, s6, 3
	v_mul_f64 v[14:15], v[10:11], s[4:5]
	v_fma_f64 v[54:55], v[8:9], s[8:9], v[14:15]
	v_mul_f64 v[8:9], v[8:9], s[4:5]
	v_add_f64 v[14:15], v[22:23], v[46:47]
	v_add_f64 v[20:21], v[28:29], v[54:55]
	v_fma_f64 v[56:57], v[10:11], s[8:9], -v[8:9]
	v_mul_f64 v[8:9], v[2:3], s[8:9]
	v_mul_f64 v[2:3], v[2:3], s[4:5]
	v_add_f64 v[10:11], v[62:63], v[58:59]
	v_add_f64 v[28:29], v[28:29], -v[54:55]
	v_add_f64 v[22:23], v[30:31], v[56:57]
	v_fma_f64 v[8:9], v[0:1], s[4:5], v[8:9]
	v_fma_f64 v[2:3], v[0:1], s[8:9], -v[2:3]
	v_add_f64 v[0:1], v[42:43], v[60:61]
	v_add_f64 v[42:43], v[42:43], -v[60:61]
	v_add_f64 v[60:61], v[50:51], v[12:13]
	v_add_f64 v[50:51], v[50:51], -v[12:13]
	v_mov_b32_e32 v12, s3
	v_add_f64 v[30:31], v[30:31], -v[56:57]
	s_waitcnt vmcnt(1)
	v_lshlrev_b32_e32 v4, 17, v4
	s_waitcnt vmcnt(0)
	v_lshlrev_b32_e32 v5, 1, v5
	v_add3_u32 v4, v4, s0, v5
	v_ashrrev_i32_e32 v5, 31, v4
	v_lshlrev_b64 v[4:5], 3, v[4:5]
	s_brev_b32 s0, 16
	v_add_co_u32_e32 v4, vcc, s2, v4
	v_addc_co_u32_e32 v5, vcc, v12, v5, vcc
	v_add_f64 v[12:13], v[0:1], v[60:61]
	global_store_dwordx4 v[4:5], v[10:13], off
	s_nop 0
	v_add_f64 v[10:11], v[62:63], -v[58:59]
	v_add_f64 v[12:13], v[0:1], -v[60:61]
	v_add_co_u32_e32 v0, vcc, s0, v4
	v_addc_co_u32_e32 v1, vcc, 0, v5, vcc
	s_brev_b32 s0, 32
	global_store_dwordx4 v[0:1], v[10:13], off
	s_nop 0
	v_add_f64 v[10:11], v[40:41], v[50:51]
	v_add_f64 v[12:13], v[42:43], -v[48:49]
	v_add_co_u32_e32 v0, vcc, s0, v4
	v_addc_co_u32_e32 v1, vcc, 0, v5, vcc
	s_brev_b32 s0, 48
	global_store_dwordx4 v[0:1], v[10:13], off
	s_nop 0
	v_add_f64 v[10:11], v[40:41], -v[50:51]
	v_add_f64 v[12:13], v[42:43], v[48:49]
	v_add_co_u32_e32 v0, vcc, s0, v4
	v_addc_co_u32_e32 v1, vcc, 0, v5, vcc
	s_mov_b32 s0, 0x1000000
	v_add_co_u32_e32 v40, vcc, s0, v4
	global_store_dwordx4 v[0:1], v[10:13], off
	buffer_load_dword v10, off, s[16:19], 0 offset:52 ; 4-byte Folded Reload
	s_nop 0
	buffer_load_dword v11, off, s[16:19], 0 offset:56 ; 4-byte Folded Reload
	v_add_f64 v[12:13], v[14:15], v[22:23]
	v_addc_co_u32_e32 v41, vcc, 0, v5, vcc
	s_mov_b32 s0, 0x9000000
	s_waitcnt vmcnt(0)
	v_add_f64 v[0:1], v[10:11], v[44:45]
	v_add_f64 v[16:17], v[10:11], -v[44:45]
	v_add_f64 v[10:11], v[0:1], v[20:21]
	global_store_dwordx4 v[40:41], v[10:13], off
	s_nop 0
	v_add_f64 v[10:11], v[0:1], -v[20:21]
	v_add_f64 v[12:13], v[14:15], -v[22:23]
	v_add_co_u32_e32 v0, vcc, s0, v4
	v_addc_co_u32_e32 v1, vcc, 0, v5, vcc
	s_mov_b32 s0, 0x5000000
	v_add_f64 v[20:21], v[24:25], v[6:7]
	v_add_f64 v[22:23], v[26:27], -v[52:53]
	global_store_dwordx4 v[0:1], v[10:13], off
	v_add_co_u32_e32 v0, vcc, s0, v4
	v_add_f64 v[10:11], v[16:17], v[30:31]
	v_add_f64 v[12:13], v[18:19], -v[28:29]
	v_addc_co_u32_e32 v1, vcc, 0, v5, vcc
	s_mov_b32 s0, 0xd000000
	v_add_f64 v[6:7], v[24:25], -v[6:7]
	v_add_f64 v[24:25], v[26:27], v[52:53]
	global_store_dwordx4 v[0:1], v[10:13], off
	s_nop 0
	v_add_f64 v[10:11], v[16:17], -v[30:31]
	v_add_f64 v[12:13], v[18:19], v[28:29]
	v_add_co_u32_e32 v0, vcc, s0, v4
	v_addc_co_u32_e32 v1, vcc, 0, v5, vcc
	s_brev_b32 s0, 64
	v_add_co_u32_e32 v26, vcc, s0, v4
	global_store_dwordx4 v[0:1], v[10:13], off
	buffer_load_dword v10, off, s[16:19], 0 offset:20 ; 4-byte Folded Reload
	s_nop 0
	buffer_load_dword v11, off, s[16:19], 0 offset:24 ; 4-byte Folded Reload
	buffer_load_dword v12, off, s[16:19], 0 offset:28 ; 4-byte Folded Reload
	buffer_load_dword v13, off, s[16:19], 0 offset:32 ; 4-byte Folded Reload
	v_addc_co_u32_e32 v27, vcc, 0, v5, vcc
	s_mov_b32 s0, 0xa000000
	s_waitcnt vmcnt(2)
	v_add_f64 v[0:1], v[10:11], v[38:39]
	s_waitcnt vmcnt(0)
	v_add_f64 v[14:15], v[12:13], -v[36:37]
	v_add_f64 v[16:17], v[10:11], -v[38:39]
	v_add_f64 v[18:19], v[12:13], v[36:37]
	v_add_f64 v[10:11], v[0:1], v[20:21]
	;; [unrolled: 1-line block ×3, first 2 shown]
	global_store_dwordx4 v[26:27], v[10:13], off
	s_nop 0
	v_add_f64 v[10:11], v[0:1], -v[20:21]
	v_add_f64 v[12:13], v[14:15], -v[22:23]
	v_add_co_u32_e32 v0, vcc, s0, v4
	v_addc_co_u32_e32 v1, vcc, 0, v5, vcc
	s_mov_b32 s0, 0x6000000
	global_store_dwordx4 v[0:1], v[10:13], off
	s_nop 0
	v_add_f64 v[10:11], v[16:17], v[24:25]
	v_add_f64 v[12:13], v[18:19], -v[6:7]
	v_add_co_u32_e32 v0, vcc, s0, v4
	v_addc_co_u32_e32 v1, vcc, 0, v5, vcc
	s_mov_b32 s0, 0xe000000
	global_store_dwordx4 v[0:1], v[10:13], off
	s_nop 0
	v_add_f64 v[10:11], v[16:17], -v[24:25]
	v_add_f64 v[12:13], v[18:19], v[6:7]
	v_add_co_u32_e32 v0, vcc, s0, v4
	v_addc_co_u32_e32 v1, vcc, 0, v5, vcc
	s_mov_b32 s0, 0x3000000
	v_add_co_u32_e32 v22, vcc, s0, v4
	global_store_dwordx4 v[0:1], v[10:13], off
	buffer_load_dword v0, off, s[16:19], 0 offset:4 ; 4-byte Folded Reload
	s_nop 0
	buffer_load_dword v1, off, s[16:19], 0 offset:8 ; 4-byte Folded Reload
	buffer_load_dword v14, off, s[16:19], 0 offset:12 ; 4-byte Folded Reload
	;; [unrolled: 1-line block ×3, first 2 shown]
	v_addc_co_u32_e32 v23, vcc, 0, v5, vcc
	s_mov_b32 s0, 0xb000000
	s_waitcnt vmcnt(2)
	v_add_f64 v[6:7], v[0:1], v[32:33]
	v_add_f64 v[12:13], v[0:1], -v[32:33]
	buffer_load_dword v0, off, s[16:19], 0 offset:36 ; 4-byte Folded Reload
	buffer_load_dword v1, off, s[16:19], 0 offset:40 ; 4-byte Folded Reload
	buffer_load_dword v20, off, s[16:19], 0 offset:44 ; 4-byte Folded Reload
	buffer_load_dword v21, off, s[16:19], 0 offset:48 ; 4-byte Folded Reload
	s_waitcnt vmcnt(4)
	v_add_f64 v[10:11], v[14:15], -v[34:35]
	v_add_f64 v[14:15], v[14:15], v[34:35]
	s_waitcnt vmcnt(2)
	v_add_f64 v[16:17], v[0:1], -v[8:9]
	s_waitcnt vmcnt(0)
	v_add_f64 v[18:19], v[20:21], v[2:3]
	v_add_f64 v[8:9], v[0:1], v[8:9]
	v_add_f64 v[20:21], v[20:21], -v[2:3]
	v_add_f64 v[0:1], v[6:7], v[16:17]
	v_add_f64 v[2:3], v[10:11], v[18:19]
	global_store_dwordx4 v[22:23], v[0:3], off
	s_nop 0
	v_add_f64 v[0:1], v[6:7], -v[16:17]
	v_add_f64 v[2:3], v[10:11], -v[18:19]
	v_add_co_u32_e32 v6, vcc, s0, v4
	v_addc_co_u32_e32 v7, vcc, 0, v5, vcc
	s_mov_b32 s0, 0x7000000
	global_store_dwordx4 v[6:7], v[0:3], off
	s_nop 0
	v_add_f64 v[0:1], v[12:13], v[20:21]
	v_add_f64 v[2:3], v[14:15], -v[8:9]
	v_add_co_u32_e32 v6, vcc, s0, v4
	v_addc_co_u32_e32 v7, vcc, 0, v5, vcc
	v_add_co_u32_e32 v4, vcc, 0xf000000, v4
	v_addc_co_u32_e32 v5, vcc, 0, v5, vcc
	global_store_dwordx4 v[6:7], v[0:3], off
	s_nop 0
	v_add_f64 v[0:1], v[12:13], -v[20:21]
	v_add_f64 v[2:3], v[14:15], v[8:9]
	global_store_dwordx4 v[4:5], v[0:3], off
	s_waitcnt vmcnt(0)
	s_barrier
	s_endpgm
	.section	.rodata,"a",@progbits
	.p2align	6, 0x0
	.amdhsa_kernel _Z30ker_zmddft_fwd_256x256x256_cu0PKdPd
		.amdhsa_group_segment_fixed_size 16384
		.amdhsa_private_segment_fixed_size 68
		.amdhsa_kernarg_size 16
		.amdhsa_user_sgpr_count 6
		.amdhsa_user_sgpr_private_segment_buffer 1
		.amdhsa_user_sgpr_dispatch_ptr 0
		.amdhsa_user_sgpr_queue_ptr 0
		.amdhsa_user_sgpr_kernarg_segment_ptr 1
		.amdhsa_user_sgpr_dispatch_id 0
		.amdhsa_user_sgpr_flat_scratch_init 0
		.amdhsa_user_sgpr_private_segment_size 0
		.amdhsa_uses_dynamic_stack 0
		.amdhsa_system_sgpr_private_segment_wavefront_offset 1
		.amdhsa_system_sgpr_workgroup_id_x 1
		.amdhsa_system_sgpr_workgroup_id_y 0
		.amdhsa_system_sgpr_workgroup_id_z 0
		.amdhsa_system_sgpr_workgroup_info 0
		.amdhsa_system_vgpr_workitem_id 0
		.amdhsa_next_free_vgpr 64
		.amdhsa_next_free_sgpr 61
		.amdhsa_reserve_vcc 1
		.amdhsa_reserve_flat_scratch 0
		.amdhsa_float_round_mode_32 0
		.amdhsa_float_round_mode_16_64 0
		.amdhsa_float_denorm_mode_32 3
		.amdhsa_float_denorm_mode_16_64 3
		.amdhsa_dx10_clamp 1
		.amdhsa_ieee_mode 1
		.amdhsa_fp16_overflow 0
		.amdhsa_exception_fp_ieee_invalid_op 0
		.amdhsa_exception_fp_denorm_src 0
		.amdhsa_exception_fp_ieee_div_zero 0
		.amdhsa_exception_fp_ieee_overflow 0
		.amdhsa_exception_fp_ieee_underflow 0
		.amdhsa_exception_fp_ieee_inexact 0
		.amdhsa_exception_int_div_zero 0
	.end_amdhsa_kernel
	.text
.Lfunc_end0:
	.size	_Z30ker_zmddft_fwd_256x256x256_cu0PKdPd, .Lfunc_end0-_Z30ker_zmddft_fwd_256x256x256_cu0PKdPd
                                        ; -- End function
	.set _Z30ker_zmddft_fwd_256x256x256_cu0PKdPd.num_vgpr, 64
	.set _Z30ker_zmddft_fwd_256x256x256_cu0PKdPd.num_agpr, 0
	.set _Z30ker_zmddft_fwd_256x256x256_cu0PKdPd.numbered_sgpr, 20
	.set _Z30ker_zmddft_fwd_256x256x256_cu0PKdPd.num_named_barrier, 0
	.set _Z30ker_zmddft_fwd_256x256x256_cu0PKdPd.private_seg_size, 68
	.set _Z30ker_zmddft_fwd_256x256x256_cu0PKdPd.uses_vcc, 1
	.set _Z30ker_zmddft_fwd_256x256x256_cu0PKdPd.uses_flat_scratch, 0
	.set _Z30ker_zmddft_fwd_256x256x256_cu0PKdPd.has_dyn_sized_stack, 0
	.set _Z30ker_zmddft_fwd_256x256x256_cu0PKdPd.has_recursion, 0
	.set _Z30ker_zmddft_fwd_256x256x256_cu0PKdPd.has_indirect_call, 0
	.section	.AMDGPU.csdata,"",@progbits
; Kernel info:
; codeLenInByte = 4832
; TotalNumSgprs: 24
; NumVgprs: 64
; ScratchSize: 68
; MemoryBound: 0
; FloatMode: 240
; IeeeMode: 1
; LDSByteSize: 16384 bytes/workgroup (compile time only)
; SGPRBlocks: 8
; VGPRBlocks: 15
; NumSGPRsForWavesPerEU: 65
; NumVGPRsForWavesPerEU: 64
; Occupancy: 4
; WaveLimiterHint : 1
; COMPUTE_PGM_RSRC2:SCRATCH_EN: 1
; COMPUTE_PGM_RSRC2:USER_SGPR: 6
; COMPUTE_PGM_RSRC2:TRAP_HANDLER: 0
; COMPUTE_PGM_RSRC2:TGID_X_EN: 1
; COMPUTE_PGM_RSRC2:TGID_Y_EN: 0
; COMPUTE_PGM_RSRC2:TGID_Z_EN: 0
; COMPUTE_PGM_RSRC2:TIDIG_COMP_CNT: 0
	.text
	.protected	_Z30ker_zmddft_fwd_256x256x256_cu1PKdPd ; -- Begin function _Z30ker_zmddft_fwd_256x256x256_cu1PKdPd
	.globl	_Z30ker_zmddft_fwd_256x256x256_cu1PKdPd
	.p2align	8
	.type	_Z30ker_zmddft_fwd_256x256x256_cu1PKdPd,@function
_Z30ker_zmddft_fwd_256x256x256_cu1PKdPd: ; @_Z30ker_zmddft_fwd_256x256x256_cu1PKdPd
; %bb.0:
	s_mov_b64 s[18:19], s[2:3]
	v_mov_b32_e32 v63, v0
	s_mov_b64 s[16:17], s[0:1]
	v_lshlrev_b32_e32 v0, 5, v63
	s_add_u32 s16, s16, s7
	v_and_b32_e32 v0, 0x7e00, v0
	s_addc_u32 s17, s17, 0
	s_load_dwordx4 s[0:3], s[4:5], 0x0
	v_and_b32_e32 v1, 15, v63
	v_lshl_add_u32 v0, s6, 11, v0
	buffer_store_dword v1, off, s[16:19], 0 ; 4-byte Folded Spill
	v_lshl_or_b32 v1, v1, 1, v0
	v_ashrrev_i32_e32 v2, 31, v1
	v_lshlrev_b64 v[1:2], 3, v[1:2]
	s_waitcnt lgkmcnt(0)
	v_mov_b32_e32 v0, s1
	v_add_co_u32_e32 v37, vcc, s0, v1
	v_addc_co_u32_e32 v38, vcc, v0, v2, vcc
	global_load_dwordx4 v[1:4], v[37:38], off
	global_load_dwordx4 v[5:8], v[37:38], off offset:2048
	s_mov_b32 s0, 0x667f3bcd
	s_mov_b32 s1, 0x3fe6a09e
	;; [unrolled: 1-line block ×8, first 2 shown]
	s_getpc_b64 s[12:13]
	s_add_u32 s12, s12, _ZL2D3@rel32@lo+4
	s_addc_u32 s13, s13, _ZL2D3@rel32@hi+12
	s_waitcnt vmcnt(0)
	v_add_f64 v[9:10], v[1:2], v[5:6]
	v_add_f64 v[11:12], v[3:4], v[7:8]
	v_add_f64 v[13:14], v[1:2], -v[5:6]
	v_add_f64 v[15:16], v[3:4], -v[7:8]
	global_load_dwordx4 v[1:4], v[37:38], off offset:1024
	global_load_dwordx4 v[5:8], v[37:38], off offset:3072
	s_waitcnt vmcnt(0)
	v_add_f64 v[17:18], v[1:2], v[5:6]
	v_add_f64 v[19:20], v[3:4], v[7:8]
	v_add_f64 v[25:26], v[1:2], -v[5:6]
	v_add_f64 v[1:2], v[3:4], -v[7:8]
	;; [unrolled: 1-line block ×3, first 2 shown]
	buffer_store_dword v3, off, s[16:19], 0 offset:20 ; 4-byte Folded Spill
	s_nop 0
	buffer_store_dword v4, off, s[16:19], 0 offset:24 ; 4-byte Folded Spill
	v_add_f64 v[3:4], v[11:12], -v[19:20]
	v_add_f64 v[21:22], v[13:14], v[1:2]
	v_add_f64 v[0:1], v[13:14], -v[1:2]
	buffer_store_dword v3, off, s[16:19], 0 offset:28 ; 4-byte Folded Spill
	s_nop 0
	buffer_store_dword v4, off, s[16:19], 0 offset:32 ; 4-byte Folded Spill
	buffer_store_dword v0, off, s[16:19], 0 offset:4 ; 4-byte Folded Spill
	s_nop 0
	buffer_store_dword v1, off, s[16:19], 0 offset:8 ; 4-byte Folded Spill
	v_add_f64 v[0:1], v[15:16], v[25:26]
	buffer_store_dword v0, off, s[16:19], 0 offset:12 ; 4-byte Folded Spill
	s_nop 0
	buffer_store_dword v1, off, s[16:19], 0 offset:16 ; 4-byte Folded Spill
	v_add_f64 v[33:34], v[9:10], v[17:18]
	v_add_f64 v[35:36], v[11:12], v[19:20]
	v_add_f64 v[23:24], v[15:16], -v[25:26]
	global_load_dwordx4 v[9:12], v[37:38], off offset:256
	global_load_dwordx4 v[13:16], v[37:38], off offset:2304
	s_waitcnt vmcnt(0)
	v_add_f64 v[17:18], v[9:10], v[13:14]
	v_add_f64 v[19:20], v[11:12], v[15:16]
	v_add_f64 v[25:26], v[9:10], -v[13:14]
	v_add_f64 v[27:28], v[11:12], -v[15:16]
	global_load_dwordx4 v[9:12], v[37:38], off offset:1280
	global_load_dwordx4 v[13:16], v[37:38], off offset:3328
	s_waitcnt vmcnt(0)
	v_add_f64 v[29:30], v[9:10], v[13:14]
	v_add_f64 v[31:32], v[11:12], v[15:16]
	v_add_f64 v[9:10], v[9:10], -v[13:14]
	v_add_f64 v[11:12], v[11:12], -v[15:16]
	;; [unrolled: 1-line block ×3, first 2 shown]
	v_add_f64 v[41:42], v[17:18], v[29:30]
	v_add_f64 v[17:18], v[19:20], -v[31:32]
	v_add_f64 v[43:44], v[19:20], v[31:32]
	v_add_f64 v[19:20], v[27:28], -v[9:10]
	v_add_f64 v[9:10], v[27:28], v[9:10]
	v_mul_f64 v[13:14], v[13:14], s[0:1]
	v_fma_f64 v[15:16], v[17:18], s[0:1], v[13:14]
	v_fma_f64 v[13:14], v[17:18], s[0:1], -v[13:14]
	v_add_f64 v[17:18], v[25:26], v[11:12]
	v_add_f64 v[25:26], v[25:26], -v[11:12]
	v_mul_f64 v[11:12], v[17:18], s[4:5]
	v_fma_f64 v[29:30], v[19:20], s[8:9], v[11:12]
	v_mul_f64 v[11:12], v[17:18], s[8:9]
	v_mul_f64 v[17:18], v[25:26], s[4:5]
	v_fma_f64 v[31:32], v[19:20], s[4:5], -v[11:12]
	v_mul_f64 v[11:12], v[25:26], s[8:9]
	v_fma_f64 v[11:12], v[9:10], s[4:5], v[11:12]
	v_fma_f64 v[9:10], v[9:10], s[8:9], -v[17:18]
	global_load_dwordx4 v[17:20], v[37:38], off offset:512
	global_load_dwordx4 v[25:28], v[37:38], off offset:2560
	s_waitcnt vmcnt(0)
	v_add_f64 v[39:40], v[17:18], v[25:26]
	v_add_f64 v[45:46], v[19:20], v[27:28]
	v_add_f64 v[49:50], v[17:18], -v[25:26]
	v_add_f64 v[51:52], v[19:20], -v[27:28]
	global_load_dwordx4 v[17:20], v[37:38], off offset:1536
	global_load_dwordx4 v[25:28], v[37:38], off offset:3584
	s_waitcnt vmcnt(0)
	v_add_f64 v[47:48], v[17:18], v[25:26]
	v_add_f64 v[57:58], v[19:20], v[27:28]
	v_add_f64 v[19:20], v[19:20], -v[27:28]
	v_add_f64 v[17:18], v[17:18], -v[25:26]
	v_add_f64 v[53:54], v[39:40], v[47:48]
	v_add_f64 v[25:26], v[39:40], -v[47:48]
	v_add_f64 v[39:40], v[49:50], v[19:20]
	;; [unrolled: 2-line block ×3, first 2 shown]
	v_add_f64 v[27:28], v[45:46], -v[57:58]
	v_mul_f64 v[39:40], v[39:40], s[0:1]
	v_fma_f64 v[45:46], v[47:48], s[0:1], v[39:40]
	v_fma_f64 v[47:48], v[47:48], s[0:1], -v[39:40]
	v_add_f64 v[39:40], v[51:52], v[17:18]
	v_add_f64 v[17:18], v[49:50], -v[19:20]
	global_load_dwordx4 v[49:52], v[37:38], off offset:768
	global_load_dwordx4 v[57:60], v[37:38], off offset:2816
	v_mul_f64 v[19:20], v[17:18], s[0:1]
	v_fma_f64 v[17:18], v[39:40], s[0:1], -v[19:20]
	v_fma_f64 v[19:20], v[39:40], s[0:1], v[19:20]
	s_waitcnt vmcnt(0)
	v_add_f64 v[61:62], v[49:50], v[57:58]
	v_add_f64 v[4:5], v[51:52], v[59:60]
	v_add_f64 v[57:58], v[49:50], -v[57:58]
	v_add_f64 v[59:60], v[51:52], -v[59:60]
	global_load_dwordx4 v[49:52], v[37:38], off offset:1792
	s_nop 0
	global_load_dwordx4 v[37:40], v[37:38], off offset:3840
	s_waitcnt vmcnt(0)
	v_add_f64 v[0:1], v[51:52], v[39:40]
	v_add_f64 v[2:3], v[49:50], v[37:38]
	v_add_f64 v[39:40], v[51:52], -v[39:40]
	v_add_f64 v[37:38], v[49:50], -v[37:38]
	v_add_f64 v[51:52], v[4:5], v[0:1]
	v_add_f64 v[0:1], v[4:5], -v[0:1]
	v_add_f64 v[4:5], v[61:62], -v[2:3]
	v_add_f64 v[49:50], v[61:62], v[2:3]
	v_add_f64 v[61:62], v[59:60], -v[37:38]
	v_add_f64 v[37:38], v[59:60], v[37:38]
	v_mul_f64 v[0:1], v[0:1], s[0:1]
	v_fma_f64 v[2:3], v[4:5], s[10:11], v[0:1]
	v_fma_f64 v[6:7], v[4:5], s[0:1], v[0:1]
	v_add_f64 v[4:5], v[57:58], v[39:40]
	v_add_f64 v[39:40], v[57:58], -v[39:40]
	v_add_f64 v[0:1], v[43:44], v[51:52]
	v_add_f64 v[51:52], v[43:44], -v[51:52]
	v_mul_f64 v[57:58], v[4:5], s[8:9]
	v_mul_f64 v[4:5], v[4:5], s[4:5]
	v_fma_f64 v[57:58], v[61:62], s[4:5], v[57:58]
	v_fma_f64 v[59:60], v[61:62], s[8:9], -v[4:5]
	v_mul_f64 v[4:5], v[39:40], s[4:5]
	v_fma_f64 v[61:62], v[37:38], s[8:9], v[4:5]
	v_mul_f64 v[4:5], v[37:38], s[4:5]
	v_fma_f64 v[37:38], v[39:40], s[8:9], -v[4:5]
	v_add_f64 v[4:5], v[33:34], v[53:54]
	v_add_f64 v[39:40], v[35:36], v[55:56]
	v_add_f64 v[53:54], v[33:34], -v[53:54]
	v_add_f64 v[34:35], v[35:36], -v[55:56]
	v_add_f64 v[55:56], v[41:42], v[49:50]
	v_add_f64 v[49:50], v[41:42], -v[49:50]
	v_lshlrev_b32_e32 v33, 8, v63
	v_add_f64 v[43:44], v[39:40], v[0:1]
	v_add_f64 v[41:42], v[4:5], v[55:56]
	ds_write_b128 v33, v[41:44]
	v_add_f64 v[41:42], v[4:5], -v[55:56]
	v_add_f64 v[43:44], v[39:40], -v[0:1]
	v_add_f64 v[0:1], v[21:22], v[45:46]
	v_add_f64 v[4:5], v[23:24], v[47:48]
	;; [unrolled: 1-line block ×3, first 2 shown]
	v_add_f64 v[21:22], v[21:22], -v[45:46]
	v_add_f64 v[23:24], v[23:24], -v[47:48]
	ds_write_b128 v33, v[41:44] offset:128
	v_add_f64 v[41:42], v[53:54], v[51:52]
	v_add_f64 v[43:44], v[34:35], -v[49:50]
	ds_write_b128 v33, v[41:44] offset:64
	v_add_f64 v[41:42], v[53:54], -v[51:52]
	v_add_f64 v[43:44], v[34:35], v[49:50]
	v_add_f64 v[34:35], v[29:30], v[57:58]
	ds_write_b128 v33, v[41:44] offset:192
	v_add_f64 v[41:42], v[29:30], -v[57:58]
	v_add_f64 v[43:44], v[31:32], -v[59:60]
	v_add_f64 v[29:30], v[0:1], v[34:35]
	v_add_f64 v[31:32], v[4:5], v[39:40]
	ds_write_b128 v33, v[29:32] offset:16
	v_add_f64 v[29:30], v[0:1], -v[34:35]
	v_add_f64 v[31:32], v[4:5], -v[39:40]
	ds_write_b128 v33, v[29:32] offset:144
	v_add_f64 v[29:30], v[21:22], v[43:44]
	v_add_f64 v[31:32], v[23:24], -v[41:42]
	v_add_f64 v[21:22], v[21:22], -v[43:44]
	v_add_f64 v[23:24], v[23:24], v[41:42]
	ds_write_b128 v33, v[29:32] offset:80
	ds_write_b128 v33, v[21:24] offset:208
	buffer_load_dword v4, off, s[16:19], 0 offset:20 ; 4-byte Folded Reload
	buffer_load_dword v5, off, s[16:19], 0 offset:24 ; 4-byte Folded Reload
	;; [unrolled: 1-line block ×4, first 2 shown]
	s_waitcnt vmcnt(2)
	v_add_f64 v[0:1], v[4:5], v[27:28]
	s_waitcnt vmcnt(0)
	v_add_f64 v[21:22], v[29:30], -v[25:26]
	v_add_f64 v[23:24], v[4:5], -v[27:28]
	v_add_f64 v[25:26], v[29:30], v[25:26]
	v_add_f64 v[27:28], v[15:16], v[2:3]
	v_add_f64 v[29:30], v[13:14], -v[6:7]
	v_add_f64 v[13:14], v[13:14], v[6:7]
	v_add_f64 v[2:3], v[15:16], -v[2:3]
	v_add_f64 v[5:6], v[0:1], v[27:28]
	v_add_f64 v[7:8], v[21:22], v[29:30]
	ds_write_b128 v33, v[5:8] offset:32
	v_add_f64 v[5:6], v[0:1], -v[27:28]
	v_add_f64 v[7:8], v[21:22], -v[29:30]
	ds_write_b128 v33, v[5:8] offset:160
	v_add_f64 v[5:6], v[23:24], v[13:14]
	v_add_f64 v[7:8], v[25:26], -v[2:3]
	ds_write_b128 v33, v[5:8] offset:96
	v_add_f64 v[5:6], v[23:24], -v[13:14]
	v_add_f64 v[7:8], v[25:26], v[2:3]
	ds_write_b128 v33, v[5:8] offset:224
	buffer_load_dword v0, off, s[16:19], 0 offset:4 ; 4-byte Folded Reload
	buffer_load_dword v1, off, s[16:19], 0 offset:8 ; 4-byte Folded Reload
	;; [unrolled: 1-line block ×4, first 2 shown]
	s_waitcnt vmcnt(2)
	v_add_f64 v[5:6], v[0:1], v[17:18]
	s_waitcnt vmcnt(0)
	v_add_f64 v[7:8], v[2:3], -v[19:20]
	v_add_f64 v[13:14], v[0:1], -v[17:18]
	v_add_f64 v[15:16], v[2:3], v[19:20]
	v_add_f64 v[17:18], v[11:12], -v[61:62]
	v_add_f64 v[19:20], v[9:10], v[37:38]
	v_add_f64 v[11:12], v[11:12], v[61:62]
	v_add_f64 v[9:10], v[9:10], -v[37:38]
	v_add_f64 v[1:2], v[5:6], v[17:18]
	v_add_f64 v[3:4], v[7:8], v[19:20]
	ds_write_b128 v33, v[1:4] offset:48
	v_add_f64 v[1:2], v[5:6], -v[17:18]
	v_add_f64 v[3:4], v[7:8], -v[19:20]
	ds_write_b128 v33, v[1:4] offset:176
	v_add_f64 v[1:2], v[13:14], v[9:10]
	v_add_f64 v[3:4], v[15:16], -v[11:12]
	ds_write_b128 v33, v[1:4] offset:112
	v_add_f64 v[1:2], v[13:14], -v[9:10]
	v_add_f64 v[3:4], v[15:16], v[11:12]
	ds_write_b128 v33, v[1:4] offset:240
	s_waitcnt lgkmcnt(0)
	s_barrier
	buffer_load_dword v8, off, s[16:19], 0  ; 4-byte Folded Reload
	v_lshrrev_b32_e32 v1, 4, v63
	buffer_store_dword v1, off, s[16:19], 0 offset:60 ; 4-byte Folded Spill
	s_waitcnt vmcnt(1)
	v_lshlrev_b32_e32 v0, 4, v8
	v_lshl_or_b32 v40, v1, 12, v0
	v_lshlrev_b32_e32 v56, 8, v8
	ds_read_b128 v[0:3], v40
	ds_read_b128 v[4:7], v40 offset:2048
	global_load_dwordx4 v[11:14], v56, s[12:13] offset:48
	global_load_dwordx4 v[15:18], v56, s[12:13] offset:32
	global_load_dwordx4 v[19:22], v56, s[12:13] offset:16
	global_load_dwordx4 v[23:26], v56, s[12:13]
	s_getpc_b64 s[12:13]
	s_add_u32 s12, s12, _ZL2D3@rel32@lo+68
	s_addc_u32 s13, s13, _ZL2D3@rel32@hi+76
	s_waitcnt vmcnt(0) lgkmcnt(1)
	v_mul_f64 v[8:9], v[2:3], v[25:26]
	v_fma_f64 v[8:9], v[0:1], v[23:24], -v[8:9]
	v_mul_f64 v[0:1], v[0:1], v[25:26]
	v_fma_f64 v[0:1], v[2:3], v[23:24], v[0:1]
	s_waitcnt lgkmcnt(0)
	v_mul_f64 v[2:3], v[6:7], v[21:22]
	v_fma_f64 v[2:3], v[4:5], v[19:20], -v[2:3]
	v_mul_f64 v[4:5], v[4:5], v[21:22]
	v_add_f64 v[22:23], v[8:9], v[2:3]
	v_fma_f64 v[4:5], v[6:7], v[19:20], v[4:5]
	v_add_f64 v[8:9], v[8:9], -v[2:3]
	v_add_f64 v[24:25], v[0:1], v[4:5]
	v_add_f64 v[26:27], v[0:1], -v[4:5]
	ds_read_b128 v[0:3], v40 offset:1024
	ds_read_b128 v[4:7], v40 offset:3072
	s_waitcnt lgkmcnt(1)
	v_mul_f64 v[19:20], v[2:3], v[17:18]
	v_fma_f64 v[19:20], v[0:1], v[15:16], -v[19:20]
	v_mul_f64 v[0:1], v[0:1], v[17:18]
	v_fma_f64 v[0:1], v[2:3], v[15:16], v[0:1]
	s_waitcnt lgkmcnt(0)
	v_mul_f64 v[2:3], v[6:7], v[13:14]
	v_fma_f64 v[2:3], v[4:5], v[11:12], -v[2:3]
	v_mul_f64 v[4:5], v[4:5], v[13:14]
	v_fma_f64 v[4:5], v[6:7], v[11:12], v[4:5]
	v_add_f64 v[6:7], v[19:20], v[2:3]
	v_add_f64 v[2:3], v[19:20], -v[2:3]
	v_add_f64 v[10:11], v[0:1], v[4:5]
	v_add_f64 v[0:1], v[0:1], -v[4:5]
	v_add_f64 v[4:5], v[22:23], -v[6:7]
	buffer_store_dword v4, off, s[16:19], 0 offset:20 ; 4-byte Folded Spill
	s_nop 0
	buffer_store_dword v5, off, s[16:19], 0 offset:24 ; 4-byte Folded Spill
	v_add_f64 v[4:5], v[24:25], -v[10:11]
	buffer_store_dword v4, off, s[16:19], 0 offset:28 ; 4-byte Folded Spill
	s_nop 0
	buffer_store_dword v5, off, s[16:19], 0 offset:32 ; 4-byte Folded Spill
	v_add_f64 v[4:5], v[8:9], v[0:1]
	v_add_f64 v[0:1], v[8:9], -v[0:1]
	buffer_store_dword v4, off, s[16:19], 0 offset:52 ; 4-byte Folded Spill
	s_nop 0
	buffer_store_dword v5, off, s[16:19], 0 offset:56 ; 4-byte Folded Spill
	buffer_store_dword v0, off, s[16:19], 0 offset:4 ; 4-byte Folded Spill
	s_nop 0
	buffer_store_dword v1, off, s[16:19], 0 offset:8 ; 4-byte Folded Spill
	v_add_f64 v[0:1], v[26:27], v[2:3]
	buffer_store_dword v0, off, s[16:19], 0 offset:12 ; 4-byte Folded Spill
	s_nop 0
	buffer_store_dword v1, off, s[16:19], 0 offset:16 ; 4-byte Folded Spill
	v_add_f64 v[20:21], v[22:23], v[6:7]
	v_add_f64 v[42:43], v[24:25], v[10:11]
	v_add_f64 v[22:23], v[26:27], -v[2:3]
	ds_read_b128 v[4:7], v40 offset:256
	ds_read_b128 v[0:3], v40 offset:2304
	global_load_dwordx4 v[16:19], v56, s[12:13] offset:48
	global_load_dwordx4 v[24:27], v56, s[12:13] offset:32
	;; [unrolled: 1-line block ×3, first 2 shown]
	global_load_dwordx4 v[32:35], v56, s[12:13]
	s_getpc_b64 s[12:13]
	s_add_u32 s12, s12, _ZL2D3@rel32@lo+132
	s_addc_u32 s13, s13, _ZL2D3@rel32@hi+140
	s_waitcnt vmcnt(0) lgkmcnt(1)
	v_mul_f64 v[8:9], v[6:7], v[34:35]
	v_fma_f64 v[8:9], v[4:5], v[32:33], -v[8:9]
	v_mul_f64 v[4:5], v[4:5], v[34:35]
	v_fma_f64 v[4:5], v[6:7], v[32:33], v[4:5]
	s_waitcnt lgkmcnt(0)
	v_mul_f64 v[6:7], v[2:3], v[30:31]
	v_fma_f64 v[6:7], v[0:1], v[28:29], -v[6:7]
	v_mul_f64 v[0:1], v[0:1], v[30:31]
	v_add_f64 v[10:11], v[8:9], v[6:7]
	v_fma_f64 v[0:1], v[2:3], v[28:29], v[0:1]
	v_add_f64 v[8:9], v[8:9], -v[6:7]
	v_add_f64 v[12:13], v[4:5], v[0:1]
	v_add_f64 v[14:15], v[4:5], -v[0:1]
	ds_read_b128 v[0:3], v40 offset:1280
	ds_read_b128 v[4:7], v40 offset:3328
	s_waitcnt lgkmcnt(1)
	v_mul_f64 v[28:29], v[2:3], v[26:27]
	v_fma_f64 v[28:29], v[0:1], v[24:25], -v[28:29]
	v_mul_f64 v[0:1], v[0:1], v[26:27]
	v_fma_f64 v[0:1], v[2:3], v[24:25], v[0:1]
	s_waitcnt lgkmcnt(0)
	v_mul_f64 v[2:3], v[6:7], v[18:19]
	v_fma_f64 v[2:3], v[4:5], v[16:17], -v[2:3]
	v_mul_f64 v[4:5], v[4:5], v[18:19]
	v_fma_f64 v[4:5], v[6:7], v[16:17], v[4:5]
	v_add_f64 v[6:7], v[28:29], v[2:3]
	v_add_f64 v[2:3], v[28:29], -v[2:3]
	v_add_f64 v[16:17], v[0:1], v[4:5]
	v_add_f64 v[0:1], v[0:1], -v[4:5]
	v_add_f64 v[4:5], v[10:11], -v[6:7]
	v_add_f64 v[48:49], v[10:11], v[6:7]
	v_add_f64 v[6:7], v[12:13], -v[16:17]
	v_add_f64 v[50:51], v[12:13], v[16:17]
	v_mul_f64 v[4:5], v[4:5], s[0:1]
	v_fma_f64 v[24:25], v[6:7], s[0:1], v[4:5]
	v_fma_f64 v[26:27], v[6:7], s[0:1], -v[4:5]
	v_add_f64 v[6:7], v[14:15], -v[2:3]
	v_add_f64 v[4:5], v[8:9], v[0:1]
	v_add_f64 v[0:1], v[8:9], -v[0:1]
	v_add_f64 v[2:3], v[14:15], v[2:3]
	v_mul_f64 v[8:9], v[6:7], s[8:9]
	v_fma_f64 v[28:29], v[4:5], s[4:5], v[8:9]
	v_mul_f64 v[4:5], v[4:5], s[8:9]
	v_fma_f64 v[30:31], v[6:7], s[4:5], -v[4:5]
	v_mul_f64 v[4:5], v[2:3], s[4:5]
	v_fma_f64 v[4:5], v[0:1], s[8:9], v[4:5]
	v_mul_f64 v[0:1], v[0:1], s[4:5]
	buffer_store_dword v4, off, s[16:19], 0 offset:36 ; 4-byte Folded Spill
	s_nop 0
	buffer_store_dword v5, off, s[16:19], 0 offset:40 ; 4-byte Folded Spill
	v_fma_f64 v[0:1], v[2:3], s[8:9], -v[0:1]
	buffer_store_dword v0, off, s[16:19], 0 offset:44 ; 4-byte Folded Spill
	s_nop 0
	buffer_store_dword v1, off, s[16:19], 0 offset:48 ; 4-byte Folded Spill
	ds_read_b128 v[4:7], v40 offset:512
	ds_read_b128 v[0:3], v40 offset:2560
	global_load_dwordx4 v[32:35], v56, s[12:13] offset:48
	global_load_dwordx4 v[36:39], v56, s[12:13] offset:32
	;; [unrolled: 1-line block ×3, first 2 shown]
	global_load_dwordx4 v[52:55], v56, s[12:13]
	s_getpc_b64 s[12:13]
	s_add_u32 s12, s12, _ZL2D3@rel32@lo+196
	s_addc_u32 s13, s13, _ZL2D3@rel32@hi+204
	s_waitcnt vmcnt(0) lgkmcnt(1)
	v_mul_f64 v[8:9], v[6:7], v[54:55]
	v_fma_f64 v[8:9], v[4:5], v[52:53], -v[8:9]
	v_mul_f64 v[4:5], v[4:5], v[54:55]
	v_fma_f64 v[4:5], v[6:7], v[52:53], v[4:5]
	s_waitcnt lgkmcnt(0)
	v_mul_f64 v[6:7], v[2:3], v[46:47]
	v_fma_f64 v[6:7], v[0:1], v[44:45], -v[6:7]
	v_mul_f64 v[0:1], v[0:1], v[46:47]
	v_add_f64 v[10:11], v[8:9], v[6:7]
	v_fma_f64 v[0:1], v[2:3], v[44:45], v[0:1]
	v_add_f64 v[8:9], v[8:9], -v[6:7]
	v_add_f64 v[12:13], v[4:5], v[0:1]
	v_add_f64 v[14:15], v[4:5], -v[0:1]
	ds_read_b128 v[0:3], v40 offset:1536
	ds_read_b128 v[4:7], v40 offset:3584
	s_waitcnt lgkmcnt(1)
	v_mul_f64 v[16:17], v[2:3], v[38:39]
	v_fma_f64 v[16:17], v[0:1], v[36:37], -v[16:17]
	v_mul_f64 v[0:1], v[0:1], v[38:39]
	v_fma_f64 v[0:1], v[2:3], v[36:37], v[0:1]
	s_waitcnt lgkmcnt(0)
	v_mul_f64 v[2:3], v[6:7], v[34:35]
	v_fma_f64 v[2:3], v[4:5], v[32:33], -v[2:3]
	v_mul_f64 v[4:5], v[4:5], v[34:35]
	v_fma_f64 v[4:5], v[6:7], v[32:33], v[4:5]
	v_add_f64 v[6:7], v[16:17], v[2:3]
	v_add_f64 v[2:3], v[16:17], -v[2:3]
	v_add_f64 v[18:19], v[0:1], v[4:5]
	v_add_f64 v[0:1], v[0:1], -v[4:5]
	;; [unrolled: 2-line block ×3, first 2 shown]
	v_add_f64 v[6:7], v[14:15], -v[2:3]
	v_add_f64 v[2:3], v[14:15], v[2:3]
	v_add_f64 v[60:61], v[12:13], v[18:19]
	;; [unrolled: 1-line block ×3, first 2 shown]
	v_add_f64 v[0:1], v[8:9], -v[0:1]
	v_add_f64 v[38:39], v[12:13], -v[18:19]
	ds_read_b128 v[52:55], v40 offset:768
	ds_read_b128 v[8:11], v40 offset:2816
	v_mul_f64 v[2:3], v[2:3], s[0:1]
	v_mul_f64 v[4:5], v[4:5], s[0:1]
	v_fma_f64 v[32:33], v[0:1], s[10:11], v[2:3]
	v_fma_f64 v[34:35], v[0:1], s[0:1], v[2:3]
	;; [unrolled: 1-line block ×3, first 2 shown]
	v_fma_f64 v[46:47], v[6:7], s[0:1], -v[4:5]
	global_load_dwordx4 v[16:19], v56, s[12:13] offset:48
	global_load_dwordx4 v[12:15], v56, s[12:13] offset:32
	;; [unrolled: 1-line block ×3, first 2 shown]
	global_load_dwordx4 v[0:3], v56, s[12:13]
	s_waitcnt vmcnt(0) lgkmcnt(1)
	v_mul_f64 v[56:57], v[54:55], v[2:3]
	v_mul_f64 v[2:3], v[52:53], v[2:3]
	v_fma_f64 v[56:57], v[52:53], v[0:1], -v[56:57]
	v_fma_f64 v[0:1], v[54:55], v[0:1], v[2:3]
	s_waitcnt lgkmcnt(0)
	v_mul_f64 v[2:3], v[10:11], v[6:7]
	v_mul_f64 v[6:7], v[8:9], v[6:7]
	v_fma_f64 v[2:3], v[8:9], v[4:5], -v[2:3]
	v_fma_f64 v[4:5], v[10:11], v[4:5], v[6:7]
	v_add_f64 v[52:53], v[56:57], v[2:3]
	v_add_f64 v[62:63], v[0:1], v[4:5]
	v_add_f64 v[54:55], v[56:57], -v[2:3]
	v_add_f64 v[56:57], v[0:1], -v[4:5]
	ds_read_b128 v[0:3], v40 offset:1792
	ds_read_b128 v[4:7], v40 offset:3840
	v_add_f64 v[40:41], v[20:21], -v[58:59]
	s_waitcnt lgkmcnt(1)
	v_mul_f64 v[8:9], v[2:3], v[14:15]
	v_fma_f64 v[8:9], v[0:1], v[12:13], -v[8:9]
	v_mul_f64 v[0:1], v[0:1], v[14:15]
	v_fma_f64 v[0:1], v[2:3], v[12:13], v[0:1]
	s_waitcnt lgkmcnt(0)
	v_mul_f64 v[2:3], v[6:7], v[18:19]
	v_fma_f64 v[2:3], v[4:5], v[16:17], -v[2:3]
	v_mul_f64 v[4:5], v[4:5], v[18:19]
	v_add_f64 v[18:19], v[22:23], -v[46:47]
	v_fma_f64 v[4:5], v[6:7], v[16:17], v[4:5]
	v_add_f64 v[6:7], v[8:9], v[2:3]
	v_add_f64 v[2:3], v[8:9], -v[2:3]
	v_add_f64 v[10:11], v[0:1], v[4:5]
	v_add_f64 v[0:1], v[0:1], -v[4:5]
	v_add_f64 v[4:5], v[52:53], v[6:7]
	v_add_f64 v[12:13], v[62:63], v[10:11]
	v_add_f64 v[8:9], v[62:63], -v[10:11]
	v_add_f64 v[62:63], v[20:21], v[58:59]
	v_add_f64 v[58:59], v[48:49], v[4:5]
	v_add_f64 v[48:49], v[48:49], -v[4:5]
	buffer_load_dword v4, off, s[16:19], 0  ; 4-byte Folded Reload
	buffer_load_dword v5, off, s[16:19], 0 offset:60 ; 4-byte Folded Reload
	v_add_f64 v[10:11], v[52:53], -v[6:7]
	v_mul_f64 v[8:9], v[8:9], s[0:1]
	v_fma_f64 v[6:7], v[10:11], s[10:11], v[8:9]
	v_fma_f64 v[52:53], v[10:11], s[0:1], v[8:9]
	v_add_f64 v[10:11], v[56:57], -v[2:3]
	v_add_f64 v[8:9], v[54:55], v[0:1]
	v_add_f64 v[0:1], v[54:55], -v[0:1]
	v_add_f64 v[2:3], v[56:57], v[2:3]
	s_lshl_b32 s0, s6, 3
	v_mul_f64 v[14:15], v[10:11], s[4:5]
	v_fma_f64 v[54:55], v[8:9], s[8:9], v[14:15]
	v_mul_f64 v[8:9], v[8:9], s[4:5]
	v_add_f64 v[14:15], v[22:23], v[46:47]
	v_add_f64 v[20:21], v[28:29], v[54:55]
	v_fma_f64 v[56:57], v[10:11], s[8:9], -v[8:9]
	v_mul_f64 v[8:9], v[2:3], s[8:9]
	v_mul_f64 v[2:3], v[2:3], s[4:5]
	v_add_f64 v[10:11], v[62:63], v[58:59]
	v_add_f64 v[28:29], v[28:29], -v[54:55]
	v_add_f64 v[22:23], v[30:31], v[56:57]
	v_fma_f64 v[8:9], v[0:1], s[4:5], v[8:9]
	v_fma_f64 v[2:3], v[0:1], s[8:9], -v[2:3]
	v_add_f64 v[0:1], v[42:43], v[60:61]
	v_add_f64 v[42:43], v[42:43], -v[60:61]
	v_add_f64 v[60:61], v[50:51], v[12:13]
	v_add_f64 v[50:51], v[50:51], -v[12:13]
	v_mov_b32_e32 v12, s3
	v_add_f64 v[30:31], v[30:31], -v[56:57]
	s_waitcnt vmcnt(1)
	v_lshlrev_b32_e32 v4, 17, v4
	s_waitcnt vmcnt(0)
	v_lshlrev_b32_e32 v5, 1, v5
	v_add3_u32 v4, v4, s0, v5
	v_ashrrev_i32_e32 v5, 31, v4
	v_lshlrev_b64 v[4:5], 3, v[4:5]
	s_brev_b32 s0, 16
	v_add_co_u32_e32 v4, vcc, s2, v4
	v_addc_co_u32_e32 v5, vcc, v12, v5, vcc
	v_add_f64 v[12:13], v[0:1], v[60:61]
	global_store_dwordx4 v[4:5], v[10:13], off
	s_nop 0
	v_add_f64 v[10:11], v[62:63], -v[58:59]
	v_add_f64 v[12:13], v[0:1], -v[60:61]
	v_add_co_u32_e32 v0, vcc, s0, v4
	v_addc_co_u32_e32 v1, vcc, 0, v5, vcc
	s_brev_b32 s0, 32
	global_store_dwordx4 v[0:1], v[10:13], off
	s_nop 0
	v_add_f64 v[10:11], v[40:41], v[50:51]
	v_add_f64 v[12:13], v[42:43], -v[48:49]
	v_add_co_u32_e32 v0, vcc, s0, v4
	v_addc_co_u32_e32 v1, vcc, 0, v5, vcc
	s_brev_b32 s0, 48
	global_store_dwordx4 v[0:1], v[10:13], off
	s_nop 0
	v_add_f64 v[10:11], v[40:41], -v[50:51]
	v_add_f64 v[12:13], v[42:43], v[48:49]
	v_add_co_u32_e32 v0, vcc, s0, v4
	v_addc_co_u32_e32 v1, vcc, 0, v5, vcc
	s_mov_b32 s0, 0x1000000
	v_add_co_u32_e32 v40, vcc, s0, v4
	global_store_dwordx4 v[0:1], v[10:13], off
	buffer_load_dword v10, off, s[16:19], 0 offset:52 ; 4-byte Folded Reload
	s_nop 0
	buffer_load_dword v11, off, s[16:19], 0 offset:56 ; 4-byte Folded Reload
	v_add_f64 v[12:13], v[14:15], v[22:23]
	v_addc_co_u32_e32 v41, vcc, 0, v5, vcc
	s_mov_b32 s0, 0x9000000
	s_waitcnt vmcnt(0)
	v_add_f64 v[0:1], v[10:11], v[44:45]
	v_add_f64 v[16:17], v[10:11], -v[44:45]
	v_add_f64 v[10:11], v[0:1], v[20:21]
	global_store_dwordx4 v[40:41], v[10:13], off
	s_nop 0
	v_add_f64 v[10:11], v[0:1], -v[20:21]
	v_add_f64 v[12:13], v[14:15], -v[22:23]
	v_add_co_u32_e32 v0, vcc, s0, v4
	v_addc_co_u32_e32 v1, vcc, 0, v5, vcc
	s_mov_b32 s0, 0x5000000
	v_add_f64 v[20:21], v[24:25], v[6:7]
	v_add_f64 v[22:23], v[26:27], -v[52:53]
	global_store_dwordx4 v[0:1], v[10:13], off
	v_add_co_u32_e32 v0, vcc, s0, v4
	v_add_f64 v[10:11], v[16:17], v[30:31]
	v_add_f64 v[12:13], v[18:19], -v[28:29]
	v_addc_co_u32_e32 v1, vcc, 0, v5, vcc
	s_mov_b32 s0, 0xd000000
	v_add_f64 v[6:7], v[24:25], -v[6:7]
	v_add_f64 v[24:25], v[26:27], v[52:53]
	global_store_dwordx4 v[0:1], v[10:13], off
	s_nop 0
	v_add_f64 v[10:11], v[16:17], -v[30:31]
	v_add_f64 v[12:13], v[18:19], v[28:29]
	v_add_co_u32_e32 v0, vcc, s0, v4
	v_addc_co_u32_e32 v1, vcc, 0, v5, vcc
	s_brev_b32 s0, 64
	v_add_co_u32_e32 v26, vcc, s0, v4
	global_store_dwordx4 v[0:1], v[10:13], off
	buffer_load_dword v10, off, s[16:19], 0 offset:20 ; 4-byte Folded Reload
	s_nop 0
	buffer_load_dword v11, off, s[16:19], 0 offset:24 ; 4-byte Folded Reload
	buffer_load_dword v12, off, s[16:19], 0 offset:28 ; 4-byte Folded Reload
	;; [unrolled: 1-line block ×3, first 2 shown]
	v_addc_co_u32_e32 v27, vcc, 0, v5, vcc
	s_mov_b32 s0, 0xa000000
	s_waitcnt vmcnt(2)
	v_add_f64 v[0:1], v[10:11], v[38:39]
	s_waitcnt vmcnt(0)
	v_add_f64 v[14:15], v[12:13], -v[36:37]
	v_add_f64 v[16:17], v[10:11], -v[38:39]
	v_add_f64 v[18:19], v[12:13], v[36:37]
	v_add_f64 v[10:11], v[0:1], v[20:21]
	;; [unrolled: 1-line block ×3, first 2 shown]
	global_store_dwordx4 v[26:27], v[10:13], off
	s_nop 0
	v_add_f64 v[10:11], v[0:1], -v[20:21]
	v_add_f64 v[12:13], v[14:15], -v[22:23]
	v_add_co_u32_e32 v0, vcc, s0, v4
	v_addc_co_u32_e32 v1, vcc, 0, v5, vcc
	s_mov_b32 s0, 0x6000000
	global_store_dwordx4 v[0:1], v[10:13], off
	s_nop 0
	v_add_f64 v[10:11], v[16:17], v[24:25]
	v_add_f64 v[12:13], v[18:19], -v[6:7]
	v_add_co_u32_e32 v0, vcc, s0, v4
	v_addc_co_u32_e32 v1, vcc, 0, v5, vcc
	s_mov_b32 s0, 0xe000000
	global_store_dwordx4 v[0:1], v[10:13], off
	s_nop 0
	v_add_f64 v[10:11], v[16:17], -v[24:25]
	v_add_f64 v[12:13], v[18:19], v[6:7]
	v_add_co_u32_e32 v0, vcc, s0, v4
	v_addc_co_u32_e32 v1, vcc, 0, v5, vcc
	s_mov_b32 s0, 0x3000000
	v_add_co_u32_e32 v22, vcc, s0, v4
	global_store_dwordx4 v[0:1], v[10:13], off
	buffer_load_dword v0, off, s[16:19], 0 offset:4 ; 4-byte Folded Reload
	s_nop 0
	buffer_load_dword v1, off, s[16:19], 0 offset:8 ; 4-byte Folded Reload
	buffer_load_dword v14, off, s[16:19], 0 offset:12 ; 4-byte Folded Reload
	;; [unrolled: 1-line block ×3, first 2 shown]
	v_addc_co_u32_e32 v23, vcc, 0, v5, vcc
	s_mov_b32 s0, 0xb000000
	s_waitcnt vmcnt(2)
	v_add_f64 v[6:7], v[0:1], v[32:33]
	v_add_f64 v[12:13], v[0:1], -v[32:33]
	buffer_load_dword v0, off, s[16:19], 0 offset:36 ; 4-byte Folded Reload
	buffer_load_dword v1, off, s[16:19], 0 offset:40 ; 4-byte Folded Reload
	;; [unrolled: 1-line block ×4, first 2 shown]
	s_waitcnt vmcnt(4)
	v_add_f64 v[10:11], v[14:15], -v[34:35]
	v_add_f64 v[14:15], v[14:15], v[34:35]
	s_waitcnt vmcnt(2)
	v_add_f64 v[16:17], v[0:1], -v[8:9]
	s_waitcnt vmcnt(0)
	v_add_f64 v[18:19], v[20:21], v[2:3]
	v_add_f64 v[8:9], v[0:1], v[8:9]
	v_add_f64 v[20:21], v[20:21], -v[2:3]
	v_add_f64 v[0:1], v[6:7], v[16:17]
	v_add_f64 v[2:3], v[10:11], v[18:19]
	global_store_dwordx4 v[22:23], v[0:3], off
	s_nop 0
	v_add_f64 v[0:1], v[6:7], -v[16:17]
	v_add_f64 v[2:3], v[10:11], -v[18:19]
	v_add_co_u32_e32 v6, vcc, s0, v4
	v_addc_co_u32_e32 v7, vcc, 0, v5, vcc
	s_mov_b32 s0, 0x7000000
	global_store_dwordx4 v[6:7], v[0:3], off
	s_nop 0
	v_add_f64 v[0:1], v[12:13], v[20:21]
	v_add_f64 v[2:3], v[14:15], -v[8:9]
	v_add_co_u32_e32 v6, vcc, s0, v4
	v_addc_co_u32_e32 v7, vcc, 0, v5, vcc
	v_add_co_u32_e32 v4, vcc, 0xf000000, v4
	v_addc_co_u32_e32 v5, vcc, 0, v5, vcc
	global_store_dwordx4 v[6:7], v[0:3], off
	s_nop 0
	v_add_f64 v[0:1], v[12:13], -v[20:21]
	v_add_f64 v[2:3], v[14:15], v[8:9]
	global_store_dwordx4 v[4:5], v[0:3], off
	s_waitcnt vmcnt(0)
	s_barrier
	s_endpgm
	.section	.rodata,"a",@progbits
	.p2align	6, 0x0
	.amdhsa_kernel _Z30ker_zmddft_fwd_256x256x256_cu1PKdPd
		.amdhsa_group_segment_fixed_size 16384
		.amdhsa_private_segment_fixed_size 68
		.amdhsa_kernarg_size 16
		.amdhsa_user_sgpr_count 6
		.amdhsa_user_sgpr_private_segment_buffer 1
		.amdhsa_user_sgpr_dispatch_ptr 0
		.amdhsa_user_sgpr_queue_ptr 0
		.amdhsa_user_sgpr_kernarg_segment_ptr 1
		.amdhsa_user_sgpr_dispatch_id 0
		.amdhsa_user_sgpr_flat_scratch_init 0
		.amdhsa_user_sgpr_private_segment_size 0
		.amdhsa_uses_dynamic_stack 0
		.amdhsa_system_sgpr_private_segment_wavefront_offset 1
		.amdhsa_system_sgpr_workgroup_id_x 1
		.amdhsa_system_sgpr_workgroup_id_y 0
		.amdhsa_system_sgpr_workgroup_id_z 0
		.amdhsa_system_sgpr_workgroup_info 0
		.amdhsa_system_vgpr_workitem_id 0
		.amdhsa_next_free_vgpr 64
		.amdhsa_next_free_sgpr 61
		.amdhsa_reserve_vcc 1
		.amdhsa_reserve_flat_scratch 0
		.amdhsa_float_round_mode_32 0
		.amdhsa_float_round_mode_16_64 0
		.amdhsa_float_denorm_mode_32 3
		.amdhsa_float_denorm_mode_16_64 3
		.amdhsa_dx10_clamp 1
		.amdhsa_ieee_mode 1
		.amdhsa_fp16_overflow 0
		.amdhsa_exception_fp_ieee_invalid_op 0
		.amdhsa_exception_fp_denorm_src 0
		.amdhsa_exception_fp_ieee_div_zero 0
		.amdhsa_exception_fp_ieee_overflow 0
		.amdhsa_exception_fp_ieee_underflow 0
		.amdhsa_exception_fp_ieee_inexact 0
		.amdhsa_exception_int_div_zero 0
	.end_amdhsa_kernel
	.text
.Lfunc_end1:
	.size	_Z30ker_zmddft_fwd_256x256x256_cu1PKdPd, .Lfunc_end1-_Z30ker_zmddft_fwd_256x256x256_cu1PKdPd
                                        ; -- End function
	.set _Z30ker_zmddft_fwd_256x256x256_cu1PKdPd.num_vgpr, 64
	.set _Z30ker_zmddft_fwd_256x256x256_cu1PKdPd.num_agpr, 0
	.set _Z30ker_zmddft_fwd_256x256x256_cu1PKdPd.numbered_sgpr, 20
	.set _Z30ker_zmddft_fwd_256x256x256_cu1PKdPd.num_named_barrier, 0
	.set _Z30ker_zmddft_fwd_256x256x256_cu1PKdPd.private_seg_size, 68
	.set _Z30ker_zmddft_fwd_256x256x256_cu1PKdPd.uses_vcc, 1
	.set _Z30ker_zmddft_fwd_256x256x256_cu1PKdPd.uses_flat_scratch, 0
	.set _Z30ker_zmddft_fwd_256x256x256_cu1PKdPd.has_dyn_sized_stack, 0
	.set _Z30ker_zmddft_fwd_256x256x256_cu1PKdPd.has_recursion, 0
	.set _Z30ker_zmddft_fwd_256x256x256_cu1PKdPd.has_indirect_call, 0
	.section	.AMDGPU.csdata,"",@progbits
; Kernel info:
; codeLenInByte = 4832
; TotalNumSgprs: 24
; NumVgprs: 64
; ScratchSize: 68
; MemoryBound: 0
; FloatMode: 240
; IeeeMode: 1
; LDSByteSize: 16384 bytes/workgroup (compile time only)
; SGPRBlocks: 8
; VGPRBlocks: 15
; NumSGPRsForWavesPerEU: 65
; NumVGPRsForWavesPerEU: 64
; Occupancy: 4
; WaveLimiterHint : 1
; COMPUTE_PGM_RSRC2:SCRATCH_EN: 1
; COMPUTE_PGM_RSRC2:USER_SGPR: 6
; COMPUTE_PGM_RSRC2:TRAP_HANDLER: 0
; COMPUTE_PGM_RSRC2:TGID_X_EN: 1
; COMPUTE_PGM_RSRC2:TGID_Y_EN: 0
; COMPUTE_PGM_RSRC2:TGID_Z_EN: 0
; COMPUTE_PGM_RSRC2:TIDIG_COMP_CNT: 0
	.text
	.protected	_Z30ker_zmddft_fwd_256x256x256_cu2PKdPd ; -- Begin function _Z30ker_zmddft_fwd_256x256x256_cu2PKdPd
	.globl	_Z30ker_zmddft_fwd_256x256x256_cu2PKdPd
	.p2align	8
	.type	_Z30ker_zmddft_fwd_256x256x256_cu2PKdPd,@function
_Z30ker_zmddft_fwd_256x256x256_cu2PKdPd: ; @_Z30ker_zmddft_fwd_256x256x256_cu2PKdPd
; %bb.0:
	s_mov_b64 s[18:19], s[2:3]
	v_mov_b32_e32 v63, v0
	s_mov_b64 s[16:17], s[0:1]
	v_lshlrev_b32_e32 v0, 5, v63
	s_add_u32 s16, s16, s7
	v_and_b32_e32 v0, 0x7e00, v0
	s_addc_u32 s17, s17, 0
	s_load_dwordx4 s[0:3], s[4:5], 0x0
	v_and_b32_e32 v1, 15, v63
	v_lshl_add_u32 v0, s6, 11, v0
	buffer_store_dword v1, off, s[16:19], 0 ; 4-byte Folded Spill
	v_lshl_or_b32 v1, v1, 1, v0
	v_ashrrev_i32_e32 v2, 31, v1
	v_lshlrev_b64 v[1:2], 3, v[1:2]
	s_waitcnt lgkmcnt(0)
	v_mov_b32_e32 v0, s1
	v_add_co_u32_e32 v37, vcc, s0, v1
	v_addc_co_u32_e32 v38, vcc, v0, v2, vcc
	global_load_dwordx4 v[1:4], v[37:38], off
	global_load_dwordx4 v[5:8], v[37:38], off offset:2048
	s_mov_b32 s0, 0x667f3bcd
	s_mov_b32 s1, 0x3fe6a09e
	;; [unrolled: 1-line block ×8, first 2 shown]
	s_getpc_b64 s[12:13]
	s_add_u32 s12, s12, _ZL2D3@rel32@lo+4
	s_addc_u32 s13, s13, _ZL2D3@rel32@hi+12
	s_waitcnt vmcnt(0)
	v_add_f64 v[9:10], v[1:2], v[5:6]
	v_add_f64 v[11:12], v[3:4], v[7:8]
	v_add_f64 v[13:14], v[1:2], -v[5:6]
	v_add_f64 v[15:16], v[3:4], -v[7:8]
	global_load_dwordx4 v[1:4], v[37:38], off offset:1024
	global_load_dwordx4 v[5:8], v[37:38], off offset:3072
	s_waitcnt vmcnt(0)
	v_add_f64 v[17:18], v[1:2], v[5:6]
	v_add_f64 v[19:20], v[3:4], v[7:8]
	v_add_f64 v[25:26], v[1:2], -v[5:6]
	v_add_f64 v[1:2], v[3:4], -v[7:8]
	;; [unrolled: 1-line block ×3, first 2 shown]
	buffer_store_dword v3, off, s[16:19], 0 offset:20 ; 4-byte Folded Spill
	s_nop 0
	buffer_store_dword v4, off, s[16:19], 0 offset:24 ; 4-byte Folded Spill
	v_add_f64 v[3:4], v[11:12], -v[19:20]
	v_add_f64 v[21:22], v[13:14], v[1:2]
	v_add_f64 v[0:1], v[13:14], -v[1:2]
	buffer_store_dword v3, off, s[16:19], 0 offset:28 ; 4-byte Folded Spill
	s_nop 0
	buffer_store_dword v4, off, s[16:19], 0 offset:32 ; 4-byte Folded Spill
	buffer_store_dword v0, off, s[16:19], 0 offset:4 ; 4-byte Folded Spill
	s_nop 0
	buffer_store_dword v1, off, s[16:19], 0 offset:8 ; 4-byte Folded Spill
	v_add_f64 v[0:1], v[15:16], v[25:26]
	buffer_store_dword v0, off, s[16:19], 0 offset:12 ; 4-byte Folded Spill
	s_nop 0
	buffer_store_dword v1, off, s[16:19], 0 offset:16 ; 4-byte Folded Spill
	v_add_f64 v[33:34], v[9:10], v[17:18]
	v_add_f64 v[35:36], v[11:12], v[19:20]
	v_add_f64 v[23:24], v[15:16], -v[25:26]
	global_load_dwordx4 v[9:12], v[37:38], off offset:256
	global_load_dwordx4 v[13:16], v[37:38], off offset:2304
	s_waitcnt vmcnt(0)
	v_add_f64 v[17:18], v[9:10], v[13:14]
	v_add_f64 v[19:20], v[11:12], v[15:16]
	v_add_f64 v[25:26], v[9:10], -v[13:14]
	v_add_f64 v[27:28], v[11:12], -v[15:16]
	global_load_dwordx4 v[9:12], v[37:38], off offset:1280
	global_load_dwordx4 v[13:16], v[37:38], off offset:3328
	s_waitcnt vmcnt(0)
	v_add_f64 v[29:30], v[9:10], v[13:14]
	v_add_f64 v[31:32], v[11:12], v[15:16]
	v_add_f64 v[9:10], v[9:10], -v[13:14]
	v_add_f64 v[11:12], v[11:12], -v[15:16]
	;; [unrolled: 1-line block ×3, first 2 shown]
	v_add_f64 v[41:42], v[17:18], v[29:30]
	v_add_f64 v[17:18], v[19:20], -v[31:32]
	v_add_f64 v[43:44], v[19:20], v[31:32]
	v_add_f64 v[19:20], v[27:28], -v[9:10]
	v_add_f64 v[9:10], v[27:28], v[9:10]
	v_mul_f64 v[13:14], v[13:14], s[0:1]
	v_fma_f64 v[15:16], v[17:18], s[0:1], v[13:14]
	v_fma_f64 v[13:14], v[17:18], s[0:1], -v[13:14]
	v_add_f64 v[17:18], v[25:26], v[11:12]
	v_add_f64 v[25:26], v[25:26], -v[11:12]
	v_mul_f64 v[11:12], v[17:18], s[4:5]
	v_fma_f64 v[29:30], v[19:20], s[8:9], v[11:12]
	v_mul_f64 v[11:12], v[17:18], s[8:9]
	v_mul_f64 v[17:18], v[25:26], s[4:5]
	v_fma_f64 v[31:32], v[19:20], s[4:5], -v[11:12]
	v_mul_f64 v[11:12], v[25:26], s[8:9]
	v_fma_f64 v[11:12], v[9:10], s[4:5], v[11:12]
	v_fma_f64 v[9:10], v[9:10], s[8:9], -v[17:18]
	global_load_dwordx4 v[17:20], v[37:38], off offset:512
	global_load_dwordx4 v[25:28], v[37:38], off offset:2560
	s_waitcnt vmcnt(0)
	v_add_f64 v[39:40], v[17:18], v[25:26]
	v_add_f64 v[45:46], v[19:20], v[27:28]
	v_add_f64 v[49:50], v[17:18], -v[25:26]
	v_add_f64 v[51:52], v[19:20], -v[27:28]
	global_load_dwordx4 v[17:20], v[37:38], off offset:1536
	global_load_dwordx4 v[25:28], v[37:38], off offset:3584
	s_waitcnt vmcnt(0)
	v_add_f64 v[47:48], v[17:18], v[25:26]
	v_add_f64 v[57:58], v[19:20], v[27:28]
	v_add_f64 v[19:20], v[19:20], -v[27:28]
	v_add_f64 v[17:18], v[17:18], -v[25:26]
	v_add_f64 v[53:54], v[39:40], v[47:48]
	v_add_f64 v[25:26], v[39:40], -v[47:48]
	v_add_f64 v[39:40], v[49:50], v[19:20]
	;; [unrolled: 2-line block ×3, first 2 shown]
	v_add_f64 v[27:28], v[45:46], -v[57:58]
	v_mul_f64 v[39:40], v[39:40], s[0:1]
	v_fma_f64 v[45:46], v[47:48], s[0:1], v[39:40]
	v_fma_f64 v[47:48], v[47:48], s[0:1], -v[39:40]
	v_add_f64 v[39:40], v[51:52], v[17:18]
	v_add_f64 v[17:18], v[49:50], -v[19:20]
	global_load_dwordx4 v[49:52], v[37:38], off offset:768
	global_load_dwordx4 v[57:60], v[37:38], off offset:2816
	v_mul_f64 v[19:20], v[17:18], s[0:1]
	v_fma_f64 v[17:18], v[39:40], s[0:1], -v[19:20]
	v_fma_f64 v[19:20], v[39:40], s[0:1], v[19:20]
	s_waitcnt vmcnt(0)
	v_add_f64 v[61:62], v[49:50], v[57:58]
	v_add_f64 v[4:5], v[51:52], v[59:60]
	v_add_f64 v[57:58], v[49:50], -v[57:58]
	v_add_f64 v[59:60], v[51:52], -v[59:60]
	global_load_dwordx4 v[49:52], v[37:38], off offset:1792
	s_nop 0
	global_load_dwordx4 v[37:40], v[37:38], off offset:3840
	s_waitcnt vmcnt(0)
	v_add_f64 v[0:1], v[51:52], v[39:40]
	v_add_f64 v[2:3], v[49:50], v[37:38]
	v_add_f64 v[39:40], v[51:52], -v[39:40]
	v_add_f64 v[37:38], v[49:50], -v[37:38]
	v_add_f64 v[51:52], v[4:5], v[0:1]
	v_add_f64 v[0:1], v[4:5], -v[0:1]
	v_add_f64 v[4:5], v[61:62], -v[2:3]
	v_add_f64 v[49:50], v[61:62], v[2:3]
	v_add_f64 v[61:62], v[59:60], -v[37:38]
	v_add_f64 v[37:38], v[59:60], v[37:38]
	v_mul_f64 v[0:1], v[0:1], s[0:1]
	v_fma_f64 v[2:3], v[4:5], s[10:11], v[0:1]
	v_fma_f64 v[6:7], v[4:5], s[0:1], v[0:1]
	v_add_f64 v[4:5], v[57:58], v[39:40]
	v_add_f64 v[39:40], v[57:58], -v[39:40]
	v_add_f64 v[0:1], v[43:44], v[51:52]
	v_add_f64 v[51:52], v[43:44], -v[51:52]
	v_mul_f64 v[57:58], v[4:5], s[8:9]
	v_mul_f64 v[4:5], v[4:5], s[4:5]
	v_fma_f64 v[57:58], v[61:62], s[4:5], v[57:58]
	v_fma_f64 v[59:60], v[61:62], s[8:9], -v[4:5]
	v_mul_f64 v[4:5], v[39:40], s[4:5]
	v_fma_f64 v[61:62], v[37:38], s[8:9], v[4:5]
	v_mul_f64 v[4:5], v[37:38], s[4:5]
	v_fma_f64 v[37:38], v[39:40], s[8:9], -v[4:5]
	v_add_f64 v[4:5], v[33:34], v[53:54]
	v_add_f64 v[39:40], v[35:36], v[55:56]
	v_add_f64 v[53:54], v[33:34], -v[53:54]
	v_add_f64 v[34:35], v[35:36], -v[55:56]
	v_add_f64 v[55:56], v[41:42], v[49:50]
	v_add_f64 v[49:50], v[41:42], -v[49:50]
	v_lshlrev_b32_e32 v33, 8, v63
	v_add_f64 v[43:44], v[39:40], v[0:1]
	v_add_f64 v[41:42], v[4:5], v[55:56]
	ds_write_b128 v33, v[41:44]
	v_add_f64 v[41:42], v[4:5], -v[55:56]
	v_add_f64 v[43:44], v[39:40], -v[0:1]
	v_add_f64 v[0:1], v[21:22], v[45:46]
	v_add_f64 v[4:5], v[23:24], v[47:48]
	;; [unrolled: 1-line block ×3, first 2 shown]
	v_add_f64 v[21:22], v[21:22], -v[45:46]
	v_add_f64 v[23:24], v[23:24], -v[47:48]
	ds_write_b128 v33, v[41:44] offset:128
	v_add_f64 v[41:42], v[53:54], v[51:52]
	v_add_f64 v[43:44], v[34:35], -v[49:50]
	ds_write_b128 v33, v[41:44] offset:64
	v_add_f64 v[41:42], v[53:54], -v[51:52]
	v_add_f64 v[43:44], v[34:35], v[49:50]
	v_add_f64 v[34:35], v[29:30], v[57:58]
	ds_write_b128 v33, v[41:44] offset:192
	v_add_f64 v[41:42], v[29:30], -v[57:58]
	v_add_f64 v[43:44], v[31:32], -v[59:60]
	v_add_f64 v[29:30], v[0:1], v[34:35]
	v_add_f64 v[31:32], v[4:5], v[39:40]
	ds_write_b128 v33, v[29:32] offset:16
	v_add_f64 v[29:30], v[0:1], -v[34:35]
	v_add_f64 v[31:32], v[4:5], -v[39:40]
	ds_write_b128 v33, v[29:32] offset:144
	v_add_f64 v[29:30], v[21:22], v[43:44]
	v_add_f64 v[31:32], v[23:24], -v[41:42]
	v_add_f64 v[21:22], v[21:22], -v[43:44]
	v_add_f64 v[23:24], v[23:24], v[41:42]
	ds_write_b128 v33, v[29:32] offset:80
	ds_write_b128 v33, v[21:24] offset:208
	buffer_load_dword v4, off, s[16:19], 0 offset:20 ; 4-byte Folded Reload
	buffer_load_dword v5, off, s[16:19], 0 offset:24 ; 4-byte Folded Reload
	;; [unrolled: 1-line block ×4, first 2 shown]
	s_waitcnt vmcnt(2)
	v_add_f64 v[0:1], v[4:5], v[27:28]
	s_waitcnt vmcnt(0)
	v_add_f64 v[21:22], v[29:30], -v[25:26]
	v_add_f64 v[23:24], v[4:5], -v[27:28]
	v_add_f64 v[25:26], v[29:30], v[25:26]
	v_add_f64 v[27:28], v[15:16], v[2:3]
	v_add_f64 v[29:30], v[13:14], -v[6:7]
	v_add_f64 v[13:14], v[13:14], v[6:7]
	v_add_f64 v[2:3], v[15:16], -v[2:3]
	v_add_f64 v[5:6], v[0:1], v[27:28]
	v_add_f64 v[7:8], v[21:22], v[29:30]
	ds_write_b128 v33, v[5:8] offset:32
	v_add_f64 v[5:6], v[0:1], -v[27:28]
	v_add_f64 v[7:8], v[21:22], -v[29:30]
	ds_write_b128 v33, v[5:8] offset:160
	v_add_f64 v[5:6], v[23:24], v[13:14]
	v_add_f64 v[7:8], v[25:26], -v[2:3]
	ds_write_b128 v33, v[5:8] offset:96
	v_add_f64 v[5:6], v[23:24], -v[13:14]
	v_add_f64 v[7:8], v[25:26], v[2:3]
	ds_write_b128 v33, v[5:8] offset:224
	buffer_load_dword v0, off, s[16:19], 0 offset:4 ; 4-byte Folded Reload
	buffer_load_dword v1, off, s[16:19], 0 offset:8 ; 4-byte Folded Reload
	;; [unrolled: 1-line block ×4, first 2 shown]
	s_waitcnt vmcnt(2)
	v_add_f64 v[5:6], v[0:1], v[17:18]
	s_waitcnt vmcnt(0)
	v_add_f64 v[7:8], v[2:3], -v[19:20]
	v_add_f64 v[13:14], v[0:1], -v[17:18]
	v_add_f64 v[15:16], v[2:3], v[19:20]
	v_add_f64 v[17:18], v[11:12], -v[61:62]
	v_add_f64 v[19:20], v[9:10], v[37:38]
	v_add_f64 v[11:12], v[11:12], v[61:62]
	v_add_f64 v[9:10], v[9:10], -v[37:38]
	v_add_f64 v[1:2], v[5:6], v[17:18]
	v_add_f64 v[3:4], v[7:8], v[19:20]
	ds_write_b128 v33, v[1:4] offset:48
	v_add_f64 v[1:2], v[5:6], -v[17:18]
	v_add_f64 v[3:4], v[7:8], -v[19:20]
	ds_write_b128 v33, v[1:4] offset:176
	v_add_f64 v[1:2], v[13:14], v[9:10]
	v_add_f64 v[3:4], v[15:16], -v[11:12]
	ds_write_b128 v33, v[1:4] offset:112
	v_add_f64 v[1:2], v[13:14], -v[9:10]
	v_add_f64 v[3:4], v[15:16], v[11:12]
	ds_write_b128 v33, v[1:4] offset:240
	s_waitcnt lgkmcnt(0)
	s_barrier
	buffer_load_dword v8, off, s[16:19], 0  ; 4-byte Folded Reload
	v_lshrrev_b32_e32 v1, 4, v63
	buffer_store_dword v1, off, s[16:19], 0 offset:60 ; 4-byte Folded Spill
	s_waitcnt vmcnt(1)
	v_lshlrev_b32_e32 v0, 4, v8
	v_lshl_or_b32 v40, v1, 12, v0
	v_lshlrev_b32_e32 v56, 8, v8
	ds_read_b128 v[0:3], v40
	ds_read_b128 v[4:7], v40 offset:2048
	global_load_dwordx4 v[11:14], v56, s[12:13] offset:48
	global_load_dwordx4 v[15:18], v56, s[12:13] offset:32
	;; [unrolled: 1-line block ×3, first 2 shown]
	global_load_dwordx4 v[23:26], v56, s[12:13]
	s_getpc_b64 s[12:13]
	s_add_u32 s12, s12, _ZL2D3@rel32@lo+68
	s_addc_u32 s13, s13, _ZL2D3@rel32@hi+76
	s_waitcnt vmcnt(0) lgkmcnt(1)
	v_mul_f64 v[8:9], v[2:3], v[25:26]
	v_fma_f64 v[8:9], v[0:1], v[23:24], -v[8:9]
	v_mul_f64 v[0:1], v[0:1], v[25:26]
	v_fma_f64 v[0:1], v[2:3], v[23:24], v[0:1]
	s_waitcnt lgkmcnt(0)
	v_mul_f64 v[2:3], v[6:7], v[21:22]
	v_fma_f64 v[2:3], v[4:5], v[19:20], -v[2:3]
	v_mul_f64 v[4:5], v[4:5], v[21:22]
	v_add_f64 v[22:23], v[8:9], v[2:3]
	v_fma_f64 v[4:5], v[6:7], v[19:20], v[4:5]
	v_add_f64 v[8:9], v[8:9], -v[2:3]
	v_add_f64 v[24:25], v[0:1], v[4:5]
	v_add_f64 v[26:27], v[0:1], -v[4:5]
	ds_read_b128 v[0:3], v40 offset:1024
	ds_read_b128 v[4:7], v40 offset:3072
	s_waitcnt lgkmcnt(1)
	v_mul_f64 v[19:20], v[2:3], v[17:18]
	v_fma_f64 v[19:20], v[0:1], v[15:16], -v[19:20]
	v_mul_f64 v[0:1], v[0:1], v[17:18]
	v_fma_f64 v[0:1], v[2:3], v[15:16], v[0:1]
	s_waitcnt lgkmcnt(0)
	v_mul_f64 v[2:3], v[6:7], v[13:14]
	v_fma_f64 v[2:3], v[4:5], v[11:12], -v[2:3]
	v_mul_f64 v[4:5], v[4:5], v[13:14]
	v_fma_f64 v[4:5], v[6:7], v[11:12], v[4:5]
	v_add_f64 v[6:7], v[19:20], v[2:3]
	v_add_f64 v[2:3], v[19:20], -v[2:3]
	v_add_f64 v[10:11], v[0:1], v[4:5]
	v_add_f64 v[0:1], v[0:1], -v[4:5]
	v_add_f64 v[4:5], v[22:23], -v[6:7]
	buffer_store_dword v4, off, s[16:19], 0 offset:20 ; 4-byte Folded Spill
	s_nop 0
	buffer_store_dword v5, off, s[16:19], 0 offset:24 ; 4-byte Folded Spill
	v_add_f64 v[4:5], v[24:25], -v[10:11]
	buffer_store_dword v4, off, s[16:19], 0 offset:28 ; 4-byte Folded Spill
	s_nop 0
	buffer_store_dword v5, off, s[16:19], 0 offset:32 ; 4-byte Folded Spill
	v_add_f64 v[4:5], v[8:9], v[0:1]
	v_add_f64 v[0:1], v[8:9], -v[0:1]
	buffer_store_dword v4, off, s[16:19], 0 offset:52 ; 4-byte Folded Spill
	s_nop 0
	buffer_store_dword v5, off, s[16:19], 0 offset:56 ; 4-byte Folded Spill
	buffer_store_dword v0, off, s[16:19], 0 offset:4 ; 4-byte Folded Spill
	s_nop 0
	buffer_store_dword v1, off, s[16:19], 0 offset:8 ; 4-byte Folded Spill
	v_add_f64 v[0:1], v[26:27], v[2:3]
	buffer_store_dword v0, off, s[16:19], 0 offset:12 ; 4-byte Folded Spill
	s_nop 0
	buffer_store_dword v1, off, s[16:19], 0 offset:16 ; 4-byte Folded Spill
	v_add_f64 v[20:21], v[22:23], v[6:7]
	v_add_f64 v[42:43], v[24:25], v[10:11]
	v_add_f64 v[22:23], v[26:27], -v[2:3]
	ds_read_b128 v[4:7], v40 offset:256
	ds_read_b128 v[0:3], v40 offset:2304
	global_load_dwordx4 v[16:19], v56, s[12:13] offset:48
	global_load_dwordx4 v[24:27], v56, s[12:13] offset:32
	;; [unrolled: 1-line block ×3, first 2 shown]
	global_load_dwordx4 v[32:35], v56, s[12:13]
	s_getpc_b64 s[12:13]
	s_add_u32 s12, s12, _ZL2D3@rel32@lo+132
	s_addc_u32 s13, s13, _ZL2D3@rel32@hi+140
	s_waitcnt vmcnt(0) lgkmcnt(1)
	v_mul_f64 v[8:9], v[6:7], v[34:35]
	v_fma_f64 v[8:9], v[4:5], v[32:33], -v[8:9]
	v_mul_f64 v[4:5], v[4:5], v[34:35]
	v_fma_f64 v[4:5], v[6:7], v[32:33], v[4:5]
	s_waitcnt lgkmcnt(0)
	v_mul_f64 v[6:7], v[2:3], v[30:31]
	v_fma_f64 v[6:7], v[0:1], v[28:29], -v[6:7]
	v_mul_f64 v[0:1], v[0:1], v[30:31]
	v_add_f64 v[10:11], v[8:9], v[6:7]
	v_fma_f64 v[0:1], v[2:3], v[28:29], v[0:1]
	v_add_f64 v[8:9], v[8:9], -v[6:7]
	v_add_f64 v[12:13], v[4:5], v[0:1]
	v_add_f64 v[14:15], v[4:5], -v[0:1]
	ds_read_b128 v[0:3], v40 offset:1280
	ds_read_b128 v[4:7], v40 offset:3328
	s_waitcnt lgkmcnt(1)
	v_mul_f64 v[28:29], v[2:3], v[26:27]
	v_fma_f64 v[28:29], v[0:1], v[24:25], -v[28:29]
	v_mul_f64 v[0:1], v[0:1], v[26:27]
	v_fma_f64 v[0:1], v[2:3], v[24:25], v[0:1]
	s_waitcnt lgkmcnt(0)
	v_mul_f64 v[2:3], v[6:7], v[18:19]
	v_fma_f64 v[2:3], v[4:5], v[16:17], -v[2:3]
	v_mul_f64 v[4:5], v[4:5], v[18:19]
	v_fma_f64 v[4:5], v[6:7], v[16:17], v[4:5]
	v_add_f64 v[6:7], v[28:29], v[2:3]
	v_add_f64 v[2:3], v[28:29], -v[2:3]
	v_add_f64 v[16:17], v[0:1], v[4:5]
	v_add_f64 v[0:1], v[0:1], -v[4:5]
	v_add_f64 v[4:5], v[10:11], -v[6:7]
	v_add_f64 v[48:49], v[10:11], v[6:7]
	v_add_f64 v[6:7], v[12:13], -v[16:17]
	v_add_f64 v[50:51], v[12:13], v[16:17]
	v_mul_f64 v[4:5], v[4:5], s[0:1]
	v_fma_f64 v[24:25], v[6:7], s[0:1], v[4:5]
	v_fma_f64 v[26:27], v[6:7], s[0:1], -v[4:5]
	v_add_f64 v[6:7], v[14:15], -v[2:3]
	v_add_f64 v[4:5], v[8:9], v[0:1]
	v_add_f64 v[0:1], v[8:9], -v[0:1]
	v_add_f64 v[2:3], v[14:15], v[2:3]
	v_mul_f64 v[8:9], v[6:7], s[8:9]
	v_fma_f64 v[28:29], v[4:5], s[4:5], v[8:9]
	v_mul_f64 v[4:5], v[4:5], s[8:9]
	v_fma_f64 v[30:31], v[6:7], s[4:5], -v[4:5]
	v_mul_f64 v[4:5], v[2:3], s[4:5]
	v_fma_f64 v[4:5], v[0:1], s[8:9], v[4:5]
	v_mul_f64 v[0:1], v[0:1], s[4:5]
	buffer_store_dword v4, off, s[16:19], 0 offset:36 ; 4-byte Folded Spill
	s_nop 0
	buffer_store_dword v5, off, s[16:19], 0 offset:40 ; 4-byte Folded Spill
	v_fma_f64 v[0:1], v[2:3], s[8:9], -v[0:1]
	buffer_store_dword v0, off, s[16:19], 0 offset:44 ; 4-byte Folded Spill
	s_nop 0
	buffer_store_dword v1, off, s[16:19], 0 offset:48 ; 4-byte Folded Spill
	ds_read_b128 v[4:7], v40 offset:512
	ds_read_b128 v[0:3], v40 offset:2560
	global_load_dwordx4 v[32:35], v56, s[12:13] offset:48
	global_load_dwordx4 v[36:39], v56, s[12:13] offset:32
	;; [unrolled: 1-line block ×3, first 2 shown]
	global_load_dwordx4 v[52:55], v56, s[12:13]
	s_getpc_b64 s[12:13]
	s_add_u32 s12, s12, _ZL2D3@rel32@lo+196
	s_addc_u32 s13, s13, _ZL2D3@rel32@hi+204
	s_waitcnt vmcnt(0) lgkmcnt(1)
	v_mul_f64 v[8:9], v[6:7], v[54:55]
	v_fma_f64 v[8:9], v[4:5], v[52:53], -v[8:9]
	v_mul_f64 v[4:5], v[4:5], v[54:55]
	v_fma_f64 v[4:5], v[6:7], v[52:53], v[4:5]
	s_waitcnt lgkmcnt(0)
	v_mul_f64 v[6:7], v[2:3], v[46:47]
	v_fma_f64 v[6:7], v[0:1], v[44:45], -v[6:7]
	v_mul_f64 v[0:1], v[0:1], v[46:47]
	v_add_f64 v[10:11], v[8:9], v[6:7]
	v_fma_f64 v[0:1], v[2:3], v[44:45], v[0:1]
	v_add_f64 v[8:9], v[8:9], -v[6:7]
	v_add_f64 v[12:13], v[4:5], v[0:1]
	v_add_f64 v[14:15], v[4:5], -v[0:1]
	ds_read_b128 v[0:3], v40 offset:1536
	ds_read_b128 v[4:7], v40 offset:3584
	s_waitcnt lgkmcnt(1)
	v_mul_f64 v[16:17], v[2:3], v[38:39]
	v_fma_f64 v[16:17], v[0:1], v[36:37], -v[16:17]
	v_mul_f64 v[0:1], v[0:1], v[38:39]
	v_fma_f64 v[0:1], v[2:3], v[36:37], v[0:1]
	s_waitcnt lgkmcnt(0)
	v_mul_f64 v[2:3], v[6:7], v[34:35]
	v_fma_f64 v[2:3], v[4:5], v[32:33], -v[2:3]
	v_mul_f64 v[4:5], v[4:5], v[34:35]
	v_fma_f64 v[4:5], v[6:7], v[32:33], v[4:5]
	v_add_f64 v[6:7], v[16:17], v[2:3]
	v_add_f64 v[2:3], v[16:17], -v[2:3]
	v_add_f64 v[18:19], v[0:1], v[4:5]
	v_add_f64 v[0:1], v[0:1], -v[4:5]
	;; [unrolled: 2-line block ×3, first 2 shown]
	v_add_f64 v[6:7], v[14:15], -v[2:3]
	v_add_f64 v[2:3], v[14:15], v[2:3]
	v_add_f64 v[60:61], v[12:13], v[18:19]
	;; [unrolled: 1-line block ×3, first 2 shown]
	v_add_f64 v[0:1], v[8:9], -v[0:1]
	v_add_f64 v[38:39], v[12:13], -v[18:19]
	ds_read_b128 v[52:55], v40 offset:768
	ds_read_b128 v[8:11], v40 offset:2816
	v_mul_f64 v[2:3], v[2:3], s[0:1]
	v_mul_f64 v[4:5], v[4:5], s[0:1]
	v_fma_f64 v[32:33], v[0:1], s[10:11], v[2:3]
	v_fma_f64 v[34:35], v[0:1], s[0:1], v[2:3]
	;; [unrolled: 1-line block ×3, first 2 shown]
	v_fma_f64 v[46:47], v[6:7], s[0:1], -v[4:5]
	global_load_dwordx4 v[16:19], v56, s[12:13] offset:48
	global_load_dwordx4 v[12:15], v56, s[12:13] offset:32
	;; [unrolled: 1-line block ×3, first 2 shown]
	global_load_dwordx4 v[0:3], v56, s[12:13]
	s_waitcnt vmcnt(0) lgkmcnt(1)
	v_mul_f64 v[56:57], v[54:55], v[2:3]
	v_mul_f64 v[2:3], v[52:53], v[2:3]
	v_fma_f64 v[56:57], v[52:53], v[0:1], -v[56:57]
	v_fma_f64 v[0:1], v[54:55], v[0:1], v[2:3]
	s_waitcnt lgkmcnt(0)
	v_mul_f64 v[2:3], v[10:11], v[6:7]
	v_mul_f64 v[6:7], v[8:9], v[6:7]
	v_fma_f64 v[2:3], v[8:9], v[4:5], -v[2:3]
	v_fma_f64 v[4:5], v[10:11], v[4:5], v[6:7]
	v_add_f64 v[52:53], v[56:57], v[2:3]
	v_add_f64 v[62:63], v[0:1], v[4:5]
	v_add_f64 v[54:55], v[56:57], -v[2:3]
	v_add_f64 v[56:57], v[0:1], -v[4:5]
	ds_read_b128 v[0:3], v40 offset:1792
	ds_read_b128 v[4:7], v40 offset:3840
	v_add_f64 v[40:41], v[20:21], -v[58:59]
	s_waitcnt lgkmcnt(1)
	v_mul_f64 v[8:9], v[2:3], v[14:15]
	v_fma_f64 v[8:9], v[0:1], v[12:13], -v[8:9]
	v_mul_f64 v[0:1], v[0:1], v[14:15]
	v_fma_f64 v[0:1], v[2:3], v[12:13], v[0:1]
	s_waitcnt lgkmcnt(0)
	v_mul_f64 v[2:3], v[6:7], v[18:19]
	v_fma_f64 v[2:3], v[4:5], v[16:17], -v[2:3]
	v_mul_f64 v[4:5], v[4:5], v[18:19]
	v_add_f64 v[18:19], v[22:23], -v[46:47]
	v_fma_f64 v[4:5], v[6:7], v[16:17], v[4:5]
	v_add_f64 v[6:7], v[8:9], v[2:3]
	v_add_f64 v[2:3], v[8:9], -v[2:3]
	v_add_f64 v[10:11], v[0:1], v[4:5]
	v_add_f64 v[0:1], v[0:1], -v[4:5]
	v_add_f64 v[4:5], v[52:53], v[6:7]
	v_add_f64 v[12:13], v[62:63], v[10:11]
	v_add_f64 v[8:9], v[62:63], -v[10:11]
	v_add_f64 v[62:63], v[20:21], v[58:59]
	v_add_f64 v[58:59], v[48:49], v[4:5]
	v_add_f64 v[48:49], v[48:49], -v[4:5]
	buffer_load_dword v4, off, s[16:19], 0  ; 4-byte Folded Reload
	buffer_load_dword v5, off, s[16:19], 0 offset:60 ; 4-byte Folded Reload
	v_add_f64 v[10:11], v[52:53], -v[6:7]
	v_mul_f64 v[8:9], v[8:9], s[0:1]
	v_fma_f64 v[6:7], v[10:11], s[10:11], v[8:9]
	v_fma_f64 v[52:53], v[10:11], s[0:1], v[8:9]
	v_add_f64 v[10:11], v[56:57], -v[2:3]
	v_add_f64 v[8:9], v[54:55], v[0:1]
	v_add_f64 v[0:1], v[54:55], -v[0:1]
	v_add_f64 v[2:3], v[56:57], v[2:3]
	s_lshl_b32 s0, s6, 3
	v_mul_f64 v[14:15], v[10:11], s[4:5]
	v_fma_f64 v[54:55], v[8:9], s[8:9], v[14:15]
	v_mul_f64 v[8:9], v[8:9], s[4:5]
	v_add_f64 v[14:15], v[22:23], v[46:47]
	v_add_f64 v[20:21], v[28:29], v[54:55]
	v_fma_f64 v[56:57], v[10:11], s[8:9], -v[8:9]
	v_mul_f64 v[8:9], v[2:3], s[8:9]
	v_mul_f64 v[2:3], v[2:3], s[4:5]
	v_add_f64 v[10:11], v[62:63], v[58:59]
	v_add_f64 v[28:29], v[28:29], -v[54:55]
	v_add_f64 v[22:23], v[30:31], v[56:57]
	v_fma_f64 v[8:9], v[0:1], s[4:5], v[8:9]
	v_fma_f64 v[2:3], v[0:1], s[8:9], -v[2:3]
	v_add_f64 v[0:1], v[42:43], v[60:61]
	v_add_f64 v[42:43], v[42:43], -v[60:61]
	v_add_f64 v[60:61], v[50:51], v[12:13]
	v_add_f64 v[50:51], v[50:51], -v[12:13]
	v_mov_b32_e32 v12, s3
	v_add_f64 v[30:31], v[30:31], -v[56:57]
	s_waitcnt vmcnt(1)
	v_lshlrev_b32_e32 v4, 17, v4
	s_waitcnt vmcnt(0)
	v_lshlrev_b32_e32 v5, 1, v5
	v_add3_u32 v4, v4, s0, v5
	v_ashrrev_i32_e32 v5, 31, v4
	v_lshlrev_b64 v[4:5], 3, v[4:5]
	s_brev_b32 s0, 16
	v_add_co_u32_e32 v4, vcc, s2, v4
	v_addc_co_u32_e32 v5, vcc, v12, v5, vcc
	v_add_f64 v[12:13], v[0:1], v[60:61]
	global_store_dwordx4 v[4:5], v[10:13], off
	s_nop 0
	v_add_f64 v[10:11], v[62:63], -v[58:59]
	v_add_f64 v[12:13], v[0:1], -v[60:61]
	v_add_co_u32_e32 v0, vcc, s0, v4
	v_addc_co_u32_e32 v1, vcc, 0, v5, vcc
	s_brev_b32 s0, 32
	global_store_dwordx4 v[0:1], v[10:13], off
	s_nop 0
	v_add_f64 v[10:11], v[40:41], v[50:51]
	v_add_f64 v[12:13], v[42:43], -v[48:49]
	v_add_co_u32_e32 v0, vcc, s0, v4
	v_addc_co_u32_e32 v1, vcc, 0, v5, vcc
	s_brev_b32 s0, 48
	global_store_dwordx4 v[0:1], v[10:13], off
	s_nop 0
	v_add_f64 v[10:11], v[40:41], -v[50:51]
	v_add_f64 v[12:13], v[42:43], v[48:49]
	v_add_co_u32_e32 v0, vcc, s0, v4
	v_addc_co_u32_e32 v1, vcc, 0, v5, vcc
	s_mov_b32 s0, 0x1000000
	v_add_co_u32_e32 v40, vcc, s0, v4
	global_store_dwordx4 v[0:1], v[10:13], off
	buffer_load_dword v10, off, s[16:19], 0 offset:52 ; 4-byte Folded Reload
	s_nop 0
	buffer_load_dword v11, off, s[16:19], 0 offset:56 ; 4-byte Folded Reload
	v_add_f64 v[12:13], v[14:15], v[22:23]
	v_addc_co_u32_e32 v41, vcc, 0, v5, vcc
	s_mov_b32 s0, 0x9000000
	s_waitcnt vmcnt(0)
	v_add_f64 v[0:1], v[10:11], v[44:45]
	v_add_f64 v[16:17], v[10:11], -v[44:45]
	v_add_f64 v[10:11], v[0:1], v[20:21]
	global_store_dwordx4 v[40:41], v[10:13], off
	s_nop 0
	v_add_f64 v[10:11], v[0:1], -v[20:21]
	v_add_f64 v[12:13], v[14:15], -v[22:23]
	v_add_co_u32_e32 v0, vcc, s0, v4
	v_addc_co_u32_e32 v1, vcc, 0, v5, vcc
	s_mov_b32 s0, 0x5000000
	v_add_f64 v[20:21], v[24:25], v[6:7]
	v_add_f64 v[22:23], v[26:27], -v[52:53]
	global_store_dwordx4 v[0:1], v[10:13], off
	v_add_co_u32_e32 v0, vcc, s0, v4
	v_add_f64 v[10:11], v[16:17], v[30:31]
	v_add_f64 v[12:13], v[18:19], -v[28:29]
	v_addc_co_u32_e32 v1, vcc, 0, v5, vcc
	s_mov_b32 s0, 0xd000000
	v_add_f64 v[6:7], v[24:25], -v[6:7]
	v_add_f64 v[24:25], v[26:27], v[52:53]
	global_store_dwordx4 v[0:1], v[10:13], off
	s_nop 0
	v_add_f64 v[10:11], v[16:17], -v[30:31]
	v_add_f64 v[12:13], v[18:19], v[28:29]
	v_add_co_u32_e32 v0, vcc, s0, v4
	v_addc_co_u32_e32 v1, vcc, 0, v5, vcc
	s_brev_b32 s0, 64
	v_add_co_u32_e32 v26, vcc, s0, v4
	global_store_dwordx4 v[0:1], v[10:13], off
	buffer_load_dword v10, off, s[16:19], 0 offset:20 ; 4-byte Folded Reload
	s_nop 0
	buffer_load_dword v11, off, s[16:19], 0 offset:24 ; 4-byte Folded Reload
	buffer_load_dword v12, off, s[16:19], 0 offset:28 ; 4-byte Folded Reload
	;; [unrolled: 1-line block ×3, first 2 shown]
	v_addc_co_u32_e32 v27, vcc, 0, v5, vcc
	s_mov_b32 s0, 0xa000000
	s_waitcnt vmcnt(2)
	v_add_f64 v[0:1], v[10:11], v[38:39]
	s_waitcnt vmcnt(0)
	v_add_f64 v[14:15], v[12:13], -v[36:37]
	v_add_f64 v[16:17], v[10:11], -v[38:39]
	v_add_f64 v[18:19], v[12:13], v[36:37]
	v_add_f64 v[10:11], v[0:1], v[20:21]
	;; [unrolled: 1-line block ×3, first 2 shown]
	global_store_dwordx4 v[26:27], v[10:13], off
	s_nop 0
	v_add_f64 v[10:11], v[0:1], -v[20:21]
	v_add_f64 v[12:13], v[14:15], -v[22:23]
	v_add_co_u32_e32 v0, vcc, s0, v4
	v_addc_co_u32_e32 v1, vcc, 0, v5, vcc
	s_mov_b32 s0, 0x6000000
	global_store_dwordx4 v[0:1], v[10:13], off
	s_nop 0
	v_add_f64 v[10:11], v[16:17], v[24:25]
	v_add_f64 v[12:13], v[18:19], -v[6:7]
	v_add_co_u32_e32 v0, vcc, s0, v4
	v_addc_co_u32_e32 v1, vcc, 0, v5, vcc
	s_mov_b32 s0, 0xe000000
	global_store_dwordx4 v[0:1], v[10:13], off
	s_nop 0
	v_add_f64 v[10:11], v[16:17], -v[24:25]
	v_add_f64 v[12:13], v[18:19], v[6:7]
	v_add_co_u32_e32 v0, vcc, s0, v4
	v_addc_co_u32_e32 v1, vcc, 0, v5, vcc
	s_mov_b32 s0, 0x3000000
	v_add_co_u32_e32 v22, vcc, s0, v4
	global_store_dwordx4 v[0:1], v[10:13], off
	buffer_load_dword v0, off, s[16:19], 0 offset:4 ; 4-byte Folded Reload
	s_nop 0
	buffer_load_dword v1, off, s[16:19], 0 offset:8 ; 4-byte Folded Reload
	buffer_load_dword v14, off, s[16:19], 0 offset:12 ; 4-byte Folded Reload
	buffer_load_dword v15, off, s[16:19], 0 offset:16 ; 4-byte Folded Reload
	v_addc_co_u32_e32 v23, vcc, 0, v5, vcc
	s_mov_b32 s0, 0xb000000
	s_waitcnt vmcnt(2)
	v_add_f64 v[6:7], v[0:1], v[32:33]
	v_add_f64 v[12:13], v[0:1], -v[32:33]
	buffer_load_dword v0, off, s[16:19], 0 offset:36 ; 4-byte Folded Reload
	buffer_load_dword v1, off, s[16:19], 0 offset:40 ; 4-byte Folded Reload
	;; [unrolled: 1-line block ×4, first 2 shown]
	s_waitcnt vmcnt(4)
	v_add_f64 v[10:11], v[14:15], -v[34:35]
	v_add_f64 v[14:15], v[14:15], v[34:35]
	s_waitcnt vmcnt(2)
	v_add_f64 v[16:17], v[0:1], -v[8:9]
	s_waitcnt vmcnt(0)
	v_add_f64 v[18:19], v[20:21], v[2:3]
	v_add_f64 v[8:9], v[0:1], v[8:9]
	v_add_f64 v[20:21], v[20:21], -v[2:3]
	v_add_f64 v[0:1], v[6:7], v[16:17]
	v_add_f64 v[2:3], v[10:11], v[18:19]
	global_store_dwordx4 v[22:23], v[0:3], off
	s_nop 0
	v_add_f64 v[0:1], v[6:7], -v[16:17]
	v_add_f64 v[2:3], v[10:11], -v[18:19]
	v_add_co_u32_e32 v6, vcc, s0, v4
	v_addc_co_u32_e32 v7, vcc, 0, v5, vcc
	s_mov_b32 s0, 0x7000000
	global_store_dwordx4 v[6:7], v[0:3], off
	s_nop 0
	v_add_f64 v[0:1], v[12:13], v[20:21]
	v_add_f64 v[2:3], v[14:15], -v[8:9]
	v_add_co_u32_e32 v6, vcc, s0, v4
	v_addc_co_u32_e32 v7, vcc, 0, v5, vcc
	v_add_co_u32_e32 v4, vcc, 0xf000000, v4
	v_addc_co_u32_e32 v5, vcc, 0, v5, vcc
	global_store_dwordx4 v[6:7], v[0:3], off
	s_nop 0
	v_add_f64 v[0:1], v[12:13], -v[20:21]
	v_add_f64 v[2:3], v[14:15], v[8:9]
	global_store_dwordx4 v[4:5], v[0:3], off
	s_waitcnt vmcnt(0)
	s_barrier
	s_endpgm
	.section	.rodata,"a",@progbits
	.p2align	6, 0x0
	.amdhsa_kernel _Z30ker_zmddft_fwd_256x256x256_cu2PKdPd
		.amdhsa_group_segment_fixed_size 16384
		.amdhsa_private_segment_fixed_size 68
		.amdhsa_kernarg_size 16
		.amdhsa_user_sgpr_count 6
		.amdhsa_user_sgpr_private_segment_buffer 1
		.amdhsa_user_sgpr_dispatch_ptr 0
		.amdhsa_user_sgpr_queue_ptr 0
		.amdhsa_user_sgpr_kernarg_segment_ptr 1
		.amdhsa_user_sgpr_dispatch_id 0
		.amdhsa_user_sgpr_flat_scratch_init 0
		.amdhsa_user_sgpr_private_segment_size 0
		.amdhsa_uses_dynamic_stack 0
		.amdhsa_system_sgpr_private_segment_wavefront_offset 1
		.amdhsa_system_sgpr_workgroup_id_x 1
		.amdhsa_system_sgpr_workgroup_id_y 0
		.amdhsa_system_sgpr_workgroup_id_z 0
		.amdhsa_system_sgpr_workgroup_info 0
		.amdhsa_system_vgpr_workitem_id 0
		.amdhsa_next_free_vgpr 64
		.amdhsa_next_free_sgpr 61
		.amdhsa_reserve_vcc 1
		.amdhsa_reserve_flat_scratch 0
		.amdhsa_float_round_mode_32 0
		.amdhsa_float_round_mode_16_64 0
		.amdhsa_float_denorm_mode_32 3
		.amdhsa_float_denorm_mode_16_64 3
		.amdhsa_dx10_clamp 1
		.amdhsa_ieee_mode 1
		.amdhsa_fp16_overflow 0
		.amdhsa_exception_fp_ieee_invalid_op 0
		.amdhsa_exception_fp_denorm_src 0
		.amdhsa_exception_fp_ieee_div_zero 0
		.amdhsa_exception_fp_ieee_overflow 0
		.amdhsa_exception_fp_ieee_underflow 0
		.amdhsa_exception_fp_ieee_inexact 0
		.amdhsa_exception_int_div_zero 0
	.end_amdhsa_kernel
	.text
.Lfunc_end2:
	.size	_Z30ker_zmddft_fwd_256x256x256_cu2PKdPd, .Lfunc_end2-_Z30ker_zmddft_fwd_256x256x256_cu2PKdPd
                                        ; -- End function
	.set _Z30ker_zmddft_fwd_256x256x256_cu2PKdPd.num_vgpr, 64
	.set _Z30ker_zmddft_fwd_256x256x256_cu2PKdPd.num_agpr, 0
	.set _Z30ker_zmddft_fwd_256x256x256_cu2PKdPd.numbered_sgpr, 20
	.set _Z30ker_zmddft_fwd_256x256x256_cu2PKdPd.num_named_barrier, 0
	.set _Z30ker_zmddft_fwd_256x256x256_cu2PKdPd.private_seg_size, 68
	.set _Z30ker_zmddft_fwd_256x256x256_cu2PKdPd.uses_vcc, 1
	.set _Z30ker_zmddft_fwd_256x256x256_cu2PKdPd.uses_flat_scratch, 0
	.set _Z30ker_zmddft_fwd_256x256x256_cu2PKdPd.has_dyn_sized_stack, 0
	.set _Z30ker_zmddft_fwd_256x256x256_cu2PKdPd.has_recursion, 0
	.set _Z30ker_zmddft_fwd_256x256x256_cu2PKdPd.has_indirect_call, 0
	.section	.AMDGPU.csdata,"",@progbits
; Kernel info:
; codeLenInByte = 4832
; TotalNumSgprs: 24
; NumVgprs: 64
; ScratchSize: 68
; MemoryBound: 0
; FloatMode: 240
; IeeeMode: 1
; LDSByteSize: 16384 bytes/workgroup (compile time only)
; SGPRBlocks: 8
; VGPRBlocks: 15
; NumSGPRsForWavesPerEU: 65
; NumVGPRsForWavesPerEU: 64
; Occupancy: 4
; WaveLimiterHint : 1
; COMPUTE_PGM_RSRC2:SCRATCH_EN: 1
; COMPUTE_PGM_RSRC2:USER_SGPR: 6
; COMPUTE_PGM_RSRC2:TRAP_HANDLER: 0
; COMPUTE_PGM_RSRC2:TGID_X_EN: 1
; COMPUTE_PGM_RSRC2:TGID_Y_EN: 0
; COMPUTE_PGM_RSRC2:TGID_Z_EN: 0
; COMPUTE_PGM_RSRC2:TIDIG_COMP_CNT: 0
	.section	.AMDGPU.gpr_maximums,"",@progbits
	.set amdgpu.max_num_vgpr, 0
	.set amdgpu.max_num_agpr, 0
	.set amdgpu.max_num_sgpr, 0
	.section	.AMDGPU.csdata,"",@progbits
	.type	_ZL2D3,@object                  ; @_ZL2D3
	.section	.rodata,"a",@progbits
	.p2align	4, 0x0
_ZL2D3:
	.quad	0x3ff0000000000000              ; double 1
	.quad	0x0000000000000000              ; double 0
	;; [unrolled: 1-line block ×34, first 2 shown]
	.quad	0x3fef6297cff75cb0              ; double 0.98078528040323043
	.quad	0xbfc8f8b83c69a60a              ; double -0.19509032201612825
	.quad	0x3fefd88da3d12526              ; double 0.99518472667219693
	.quad	0xbfb917a6bc29b42c              ; double -0.098017140329560603
	.quad	0x3fee9f4156c62dda              ; double 0.95694033573220882
	.quad	0xbfd294062ed59f05              ; double -0.29028467725446233
	.quad	0x3feffd886084cd0d              ; double 0.99969881869620424
	.quad	0xbf992155f7a3667e              ; double -0.024541228522912288
	.quad	0x3fef38f3ac64e589              ; double 0.97570213003852857
	.quad	0xbfcc0b826a7e4f63              ; double -0.2191012401568698
	.quad	0x3fefc26470e19fd3              ; double 0.99247953459870996
	.quad	0xbfbf564e56a9730e              ; double -0.1224106751992162
	.quad	0x3fee6288ec48e112              ; double 0.94952818059303667
	.quad	0xbfd4135c94176602              ; double -0.31368174039889152
	.quad	0x3feff621e3796d7e              ; double 0.99879545620517241
	.quad	0xbfa91f65f10dd814              ; double -0.049067674327418015
	.quad	0x3fef0a7efb9230d7              ; double 0.97003125319454397
	.quad	0xbfcf19f97b215f1a              ; double -0.24298017990326387
	.quad	0x3fefa7557f08a517              ; double 0.98917650996478101
	.quad	0xbfc2c8106e8e613a              ; double -0.14673047445536175
	.quad	0x3fee212104f686e5              ; double 0.94154406518302081
	.quad	0xbfd58f9a75ab1fdd              ; double -0.33688985339222005
	.quad	0x3fefe9cdad01883a              ; double 0.99729045667869021
	.quad	0xbfb2d52092ce19f6              ; double -0.073564563599667426
	.quad	0x3feed740e7684963              ; double 0.96377606579543984
	.quad	0xbfd111d262b1f677              ; double -0.26671275747489837
	.quad	0x3fef8764fa714ba9              ; double 0.98527764238894122
	.quad	0xbfc5e214448b3fc6              ; double -0.17096188876030122
	.quad	0x3feddb13b6ccc23d              ; double 0.93299279883473896
	.quad	0xbfd7088530fa459e              ; double -0.35989503653498811
	.quad	0x3ff0000000000000              ; double 1
	.quad	0x0000000000000000              ; double 0
	.quad	0x3fed906bcf328d46              ; double 0.92387953251128674
	.quad	0xbfd87de2a6aea963              ; double -0.38268343236508978
	.quad	0x3fef6297cff75cb0              ; double 0.98078528040323043
	.quad	0xbfc8f8b83c69a60a              ; double -0.19509032201612825
	.quad	0x3fea9b66290ea1a3              ; double 0.83146961230254524
	.quad	0xbfe1c73b39ae68c8              ; double -0.55557023301960218
	.quad	0x3feff621e3796d7e              ; double 0.99879545620517241
	.quad	0xbfa91f65f10dd814              ; double -0.049067674327418015
	.quad	0x3feced7af43cc773              ; double 0.90398929312344334
	.quad	0xbfdb5d1009e15cc0              ; double -0.42755509343028208
	.quad	0x3fef0a7efb9230d7              ; double 0.97003125319454397
	.quad	0xbfcf19f97b215f1a              ; double -0.24298017990326387
	.quad	0x3fe9b3e047f38741              ; double 0.80320753148064494
	.quad	0xbfe30ff7fce17035              ; double -0.59569930449243336
	.quad	0x3fefd88da3d12526              ; double 0.99518472667219693
	.quad	0xbfb917a6bc29b42c              ; double -0.098017140329560603
	.quad	0x3fec38b2f180bdb1              ; double 0.88192126434835505
	.quad	0xbfde2b5d3806f63b              ; double -0.47139673682599764
	.quad	0x3fee9f4156c62dda              ; double 0.95694033573220882
	.quad	0xbfd294062ed59f05              ; double -0.29028467725446233
	.quad	0x3fe8bc806b151741              ; double 0.77301045336273699
	.quad	0xbfe44cf325091dd6              ; double -0.63439328416364549
	.quad	0x3fefa7557f08a517              ; double 0.98917650996478101
	.quad	0xbfc2c8106e8e613a              ; double -0.14673047445536175
	.quad	0x3feb728345196e3e              ; double 0.85772861000027212
	.quad	0xbfe073879922ffed              ; double -0.51410274419322166
	.quad	0x3fee212104f686e5              ; double 0.94154406518302081
	.quad	0xbfd58f9a75ab1fdd              ; double -0.33688985339222005
	.quad	0x3fe7b5df226aafb0              ; double 0.74095112535495922
	.quad	0xbfe57d69348cec9f              ; double -0.67155895484701833
	.quad	0x3ff0000000000000              ; double 1
	.quad	0x0000000000000000              ; double 0
	;; [unrolled: 32-line block ×4, first 2 shown]
	.quad	0x3fe1c73b39ae68c8              ; double 0.55557023301960218
	.quad	0xbfea9b66290ea1a3              ; double -0.83146961230254524
	.quad	0x3fec38b2f180bdb1              ; double 0.88192126434835505
	.quad	0xbfde2b5d3806f63b              ; double -0.47139673682599764
	;; [unrolled: 2-line block ×6, first 2 shown]
	.quad	0xbf992155f7a3667e              ; double -0.024541228522912288
	.quad	0xbfeffd886084cd0d              ; double -0.99969881869620424
	.quad	0x3fef0a7efb9230d7              ; double 0.97003125319454397
	.quad	0xbfcf19f97b215f1a              ; double -0.24298017990326387
	.quad	0x3fd58f9a75ab1fdd              ; double 0.33688985339222005
	.quad	0xbfee212104f686e5              ; double -0.94154406518302081
	.quad	0x3fe7b5df226aafb0              ; double 0.74095112535495922
	.quad	0xbfe57d69348cec9f              ; double -0.67155895484701833
	.quad	0xbfc2c8106e8e613a              ; double -0.14673047445536175
	.quad	0xbfefa7557f08a517              ; double -0.98917650996478101
	.quad	0x3feddb13b6ccc23d              ; double 0.93299279883473896
	.quad	0xbfd7088530fa459e              ; double -0.35989503653498811
	.quad	0x3fcc0b826a7e4f63              ; double 0.2191012401568698
	.quad	0xbfef38f3ac64e589              ; double -0.97570213003852857
	;; [unrolled: 2-line block ×3, first 2 shown]
	.quad	0xbfd111d262b1f677              ; double -0.26671275747489837
	.quad	0xbfeed740e7684963              ; double -0.96377606579543984
	.quad	0x3ff0000000000000              ; double 1
	.quad	0x0000000000000000              ; double 0
	.quad	0x3fd87de2a6aea963              ; double 0.38268343236508978
	.quad	0xbfed906bcf328d46              ; double -0.92387953251128674
	.quad	0x3fea9b66290ea1a3              ; double 0.83146961230254524
	.quad	0xbfe1c73b39ae68c8              ; double -0.55557023301960218
	.quad	0xbfc8f8b83c69a60a              ; double -0.19509032201612825
	.quad	0xbfef6297cff75cb0              ; double -0.98078528040323043
	.quad	0x3fefa7557f08a517              ; double 0.98917650996478101
	.quad	0xbfc2c8106e8e613a              ; double -0.14673047445536175
	.quad	0x3fcf19f97b215f1a              ; double 0.24298017990326387
	.quad	0xbfef0a7efb9230d7              ; double -0.97003125319454397
	.quad	0x3fe7b5df226aafb0              ; double 0.74095112535495922
	.quad	0xbfe57d69348cec9f              ; double -0.67155895484701833
	.quad	0xbfd58f9a75ab1fdd              ; double -0.33688985339222005
	.quad	0xbfee212104f686e5              ; double -0.94154406518302081
	.quad	0x3fee9f4156c62dda              ; double 0.95694033573220882
	.quad	0xbfd294062ed59f05              ; double -0.29028467725446233
	.quad	0x3fb917a6bc29b42c              ; double 0.098017140329560603
	.quad	0xbfefd88da3d12526              ; double -0.99518472667219693
	.quad	0x3fe44cf325091dd6              ; double 0.63439328416364549
	.quad	0xbfe8bc806b151741              ; double -0.77301045336273699
	.quad	0xbfde2b5d3806f63b              ; double -0.47139673682599764
	.quad	0xbfec38b2f180bdb1              ; double -0.88192126434835505
	.quad	0x3feced7af43cc773              ; double 0.90398929312344334
	.quad	0xbfdb5d1009e15cc0              ; double -0.42755509343028208
	.quad	0xbfa91f65f10dd814              ; double -0.049067674327418015
	.quad	0xbfeff621e3796d7e              ; double -0.99879545620517241
	.quad	0x3fe073879922ffed              ; double 0.51410274419322166
	.quad	0xbfeb728345196e3e              ; double -0.85772861000027212
	.quad	0xbfe30ff7fce17035              ; double -0.59569930449243336
	;; [unrolled: 1-line block ×3, first 2 shown]
	.quad	0x3ff0000000000000              ; double 1
	.quad	0x0000000000000000              ; double 0
	.quad	0x3fc8f8b83c69a60a              ; double 0.19509032201612825
	.quad	0xbfef6297cff75cb0              ; double -0.98078528040323043
	.quad	0x3fe8bc806b151741              ; double 0.77301045336273699
	.quad	0xbfe44cf325091dd6              ; double -0.63439328416364549
	.quad	0xbfde2b5d3806f63b              ; double -0.47139673682599764
	;; [unrolled: 1-line block ×3, first 2 shown]
	.quad	0x3fef8764fa714ba9              ; double 0.98527764238894122
	.quad	0xbfc5e214448b3fc6              ; double -0.17096188876030122
	.quad	0x3f992155f7a3667e              ; double 0.024541228522912288
	.quad	0xbfeffd886084cd0d              ; double -0.99969881869620424
	;; [unrolled: 2-line block ×3, first 2 shown]
	.quad	0xbfe3affa292050b9              ; double -0.61523159058062682
	.quad	0xbfe93a22499263fb              ; double -0.78834642762660623
	.quad	0x3fee212104f686e5              ; double 0.94154406518302081
	.quad	0xbfd58f9a75ab1fdd              ; double -0.33688985339222005
	.quad	0xbfc2c8106e8e613a              ; double -0.14673047445536175
	.quad	0xbfefa7557f08a517              ; double -0.98917650996478101
	.quad	0x3fe073879922ffed              ; double 0.51410274419322166
	.quad	0xbfeb728345196e3e              ; double -0.85772861000027212
	;; [unrolled: 4-line block ×4, first 2 shown]
	.quad	0xbfeb090a58150200              ; double -0.84485356524970712
	.quad	0xbfe11eb3541b4b22              ; double -0.53499761988709715
	.quad	0x3ff0000000000000              ; double 1
	.quad	0x0000000000000000              ; double 0
	;; [unrolled: 1-line block ×3, first 2 shown]
	.quad	0xbff0000000000000              ; double -1
	.quad	0x3fe6a09e667f3bcd              ; double 0.70710678118654757
	.quad	0xbfe6a09e667f3bcd              ; double -0.70710678118654757
	.quad	0xbfe6a09e667f3bcd              ; double -0.70710678118654757
	.quad	0xbfe6a09e667f3bcd              ; double -0.70710678118654757
	.quad	0x3fef6297cff75cb0              ; double 0.98078528040323043
	.quad	0xbfc8f8b83c69a60a              ; double -0.19509032201612825
	.quad	0xbfc8f8b83c69a60a              ; double -0.19509032201612825
	.quad	0xbfef6297cff75cb0              ; double -0.98078528040323043
	;; [unrolled: 4-line block ×7, first 2 shown]
	.quad	0x3ff0000000000000              ; double 1
	.quad	0x0000000000000000              ; double 0
	.quad	0xbfc8f8b83c69a60a              ; double -0.19509032201612825
	.quad	0xbfef6297cff75cb0              ; double -0.98078528040323043
	.quad	0x3fe44cf325091dd6              ; double 0.63439328416364549
	.quad	0xbfe8bc806b151741              ; double -0.77301045336273699
	.quad	0xbfec38b2f180bdb1              ; double -0.88192126434835505
	.quad	0xbfde2b5d3806f63b              ; double -0.47139673682599764
	.quad	0x3fef38f3ac64e589              ; double 0.97570213003852857
	.quad	0xbfcc0b826a7e4f63              ; double -0.2191012401568698
	;; [unrolled: 4-line block ×7, first 2 shown]
	.quad	0xbfef8764fa714ba9              ; double -0.98527764238894122
	.quad	0x3fc5e214448b3fc6              ; double 0.17096188876030122
	.quad	0x3ff0000000000000              ; double 1
	.quad	0x0000000000000000              ; double 0
	.quad	0xbfd87de2a6aea963              ; double -0.38268343236508978
	.quad	0xbfed906bcf328d46              ; double -0.92387953251128674
	.quad	0x3fe1c73b39ae68c8              ; double 0.55557023301960218
	.quad	0xbfea9b66290ea1a3              ; double -0.83146961230254524
	.quad	0xbfef6297cff75cb0              ; double -0.98078528040323043
	.quad	0xbfc8f8b83c69a60a              ; double -0.19509032201612825
	.quad	0x3fef0a7efb9230d7              ; double 0.97003125319454397
	.quad	0xbfcf19f97b215f1a              ; double -0.24298017990326387
	.quad	0xbfe30ff7fce17035              ; double -0.59569930449243336
	.quad	0xbfe9b3e047f38741              ; double -0.80320753148064494
	.quad	0x3fd58f9a75ab1fdd              ; double 0.33688985339222005
	.quad	0xbfee212104f686e5              ; double -0.94154406518302081
	.quad	0xbfeff621e3796d7e              ; double -0.99879545620517241
	.quad	0x3fa91f65f10dd814              ; double 0.049067674327418015
	.quad	0x3fec38b2f180bdb1              ; double 0.88192126434835505
	.quad	0xbfde2b5d3806f63b              ; double -0.47139673682599764
	.quad	0xbfe8bc806b151741              ; double -0.77301045336273699
	;; [unrolled: 1-line block ×3, first 2 shown]
	.quad	0x3fb917a6bc29b42c              ; double 0.098017140329560603
	.quad	0xbfefd88da3d12526              ; double -0.99518472667219693
	.quad	0xbfee9f4156c62dda              ; double -0.95694033573220882
	.quad	0x3fd294062ed59f05              ; double 0.29028467725446233
	.quad	0x3fe7b5df226aafb0              ; double 0.74095112535495922
	.quad	0xbfe57d69348cec9f              ; double -0.67155895484701833
	.quad	0xbfeced7af43cc773              ; double -0.90398929312344334
	;; [unrolled: 1-line block ×6, first 2 shown]
	.quad	0x3fe073879922ffed              ; double 0.51410274419322166
	.quad	0x3ff0000000000000              ; double 1
	.quad	0x0000000000000000              ; double 0
	.quad	0xbfe1c73b39ae68c8              ; double -0.55557023301960218
	.quad	0xbfea9b66290ea1a3              ; double -0.83146961230254524
	.quad	0x3fde2b5d3806f63b              ; double 0.47139673682599764
	.quad	0xbfec38b2f180bdb1              ; double -0.88192126434835505
	.quad	0xbfefd88da3d12526              ; double -0.99518472667219693
	.quad	0x3fb917a6bc29b42c              ; double 0.098017140329560603
	.quad	0x3feed740e7684963              ; double 0.96377606579543984
	.quad	0xbfd111d262b1f677              ; double -0.26671275747489837
	.quad	0xbfe83b0e0bff976e              ; double -0.75720884650648457
	.quad	0xbfe4e6cabbe3e5e9              ; double -0.65317284295377676
	.quad	0x3fcc0b826a7e4f63              ; double 0.2191012401568698
	.quad	0xbfef38f3ac64e589              ; double -0.97570213003852857
	.quad	0xbfeddb13b6ccc23d              ; double -0.93299279883473896
	.quad	0x3fd7088530fa459e              ; double 0.35989503653498811
	.quad	0x3feb728345196e3e              ; double 0.85772861000027212
	.quad	0xbfe073879922ffed              ; double -0.51410274419322166
	.quad	0xbfeced7af43cc773              ; double -0.90398929312344334
	.quad	0xbfdb5d1009e15cc0              ; double -0.42755509343028208
	.quad	0xbfa91f65f10dd814              ; double -0.049067674327418015
	.quad	0xbfeff621e3796d7e              ; double -0.99879545620517241
	.quad	0xbfe9b3e047f38741              ; double -0.80320753148064494
	.quad	0x3fe30ff7fce17035              ; double 0.59569930449243336
	.quad	0x3fe610b7551d2cde              ; double 0.68954054473706683
	.quad	0xbfe72d0837efff97              ; double -0.724247082951467
	.quad	0xbfef8764fa714ba9              ; double -0.98527764238894122
	;; [unrolled: 1-line block ×6, first 2 shown]
	.quad	0x3fe93a22499263fb              ; double 0.78834642762660623
	.quad	0x3ff0000000000000              ; double 1
	.quad	0x0000000000000000              ; double 0
	.quad	0xbfe6a09e667f3bcd              ; double -0.70710678118654757
	.quad	0xbfe6a09e667f3bcd              ; double -0.70710678118654757
	.quad	0x3fd87de2a6aea963              ; double 0.38268343236508978
	.quad	0xbfed906bcf328d46              ; double -0.92387953251128674
	.quad	0xbfed906bcf328d46              ; double -0.92387953251128674
	.quad	0x3fd87de2a6aea963              ; double 0.38268343236508978
	.quad	0x3fee9f4156c62dda              ; double 0.95694033573220882
	.quad	0xbfd294062ed59f05              ; double -0.29028467725446233
	.quad	0xbfec38b2f180bdb1              ; double -0.88192126434835505
	;; [unrolled: 1-line block ×3, first 2 shown]
	.quad	0x3fb917a6bc29b42c              ; double 0.098017140329560603
	.quad	0xbfefd88da3d12526              ; double -0.99518472667219693
	.quad	0xbfe8bc806b151741              ; double -0.77301045336273699
	.quad	0x3fe44cf325091dd6              ; double 0.63439328416364549
	.quad	0x3fea9b66290ea1a3              ; double 0.83146961230254524
	.quad	0xbfe1c73b39ae68c8              ; double -0.55557023301960218
	.quad	0xbfef6297cff75cb0              ; double -0.98078528040323043
	;; [unrolled: 1-line block ×6, first 2 shown]
	.quad	0x3fea9b66290ea1a3              ; double 0.83146961230254524
	.quad	0x3fe44cf325091dd6              ; double 0.63439328416364549
	.quad	0xbfe8bc806b151741              ; double -0.77301045336273699
	.quad	0xbfefd88da3d12526              ; double -0.99518472667219693
	.quad	0x3fb917a6bc29b42c              ; double 0.098017140329560603
	.quad	0xbfde2b5d3806f63b              ; double -0.47139673682599764
	.quad	0xbfec38b2f180bdb1              ; double -0.88192126434835505
	;; [unrolled: 1-line block ×3, first 2 shown]
	.quad	0x3fee9f4156c62dda              ; double 0.95694033573220882
	.quad	0x3ff0000000000000              ; double 1
	.quad	0x0000000000000000              ; double 0
	.quad	0xbfea9b66290ea1a3              ; double -0.83146961230254524
	.quad	0xbfe1c73b39ae68c8              ; double -0.55557023301960218
	.quad	0x3fd294062ed59f05              ; double 0.29028467725446233
	.quad	0xbfee9f4156c62dda              ; double -0.95694033573220882
	.quad	0xbfe8bc806b151741              ; double -0.77301045336273699
	.quad	0x3fe44cf325091dd6              ; double 0.63439328416364549
	.quad	0x3fee6288ec48e112              ; double 0.94952818059303667
	.quad	0xbfd4135c94176602              ; double -0.31368174039889152
	.quad	0xbfeed740e7684963              ; double -0.96377606579543984
	;; [unrolled: 1-line block ×6, first 2 shown]
	.quad	0x3feb090a58150200              ; double 0.84485356524970712
	.quad	0x3fe9b3e047f38741              ; double 0.80320753148064494
	.quad	0xbfe30ff7fce17035              ; double -0.59569930449243336
	.quad	0xbfeff621e3796d7e              ; double -0.99879545620517241
	.quad	0x3fa91f65f10dd814              ; double 0.049067674327418015
	.quad	0xbfd58f9a75ab1fdd              ; double -0.33688985339222005
	.quad	0xbfee212104f686e5              ; double -0.94154406518302081
	;; [unrolled: 1-line block ×3, first 2 shown]
	.quad	0x3fef0a7efb9230d7              ; double 0.97003125319454397
	.quad	0x3fe26d054cdd12df              ; double 0.57580819141784534
	.quad	0xbfea29a7a0462782              ; double -0.81758481315158371
	.quad	0xbfeddb13b6ccc23d              ; double -0.93299279883473896
	.quad	0x3fd7088530fa459e              ; double 0.35989503653498811
	.quad	0xbfe3affa292050b9              ; double -0.61523159058062682
	.quad	0xbfe93a22499263fb              ; double -0.78834642762660623
	.quad	0x3fb2d52092ce19f6              ; double 0.073564563599667426
	.quad	0x3fefe9cdad01883a              ; double 0.99729045667869021
	.quad	0x3ff0000000000000              ; double 1
	.quad	0x0000000000000000              ; double 0
	.quad	0xbfed906bcf328d46              ; double -0.92387953251128674
	.quad	0xbfd87de2a6aea963              ; double -0.38268343236508978
	.quad	0x3fc8f8b83c69a60a              ; double 0.19509032201612825
	.quad	0xbfef6297cff75cb0              ; double -0.98078528040323043
	.quad	0xbfe1c73b39ae68c8              ; double -0.55557023301960218
	.quad	0x3fea9b66290ea1a3              ; double 0.83146961230254524
	.quad	0x3fee212104f686e5              ; double 0.94154406518302081
	.quad	0xbfd58f9a75ab1fdd              ; double -0.33688985339222005
	.quad	0xbfeff621e3796d7e              ; double -0.99879545620517241
	;; [unrolled: 1-line block ×6, first 2 shown]
	.quad	0x3fef0a7efb9230d7              ; double 0.97003125319454397
	.quad	0x3fe8bc806b151741              ; double 0.77301045336273699
	.quad	0xbfe44cf325091dd6              ; double -0.63439328416364549
	.quad	0xbfee9f4156c62dda              ; double -0.95694033573220882
	.quad	0x3fd294062ed59f05              ; double 0.29028467725446233
	.quad	0xbfde2b5d3806f63b              ; double -0.47139673682599764
	.quad	0xbfec38b2f180bdb1              ; double -0.88192126434835505
	.quad	0x3fb917a6bc29b42c              ; double 0.098017140329560603
	.quad	0x3fefd88da3d12526              ; double 0.99518472667219693
	;; [unrolled: 1-line block ×3, first 2 shown]
	.quad	0xbfeb728345196e3e              ; double -0.85772861000027212
	.quad	0xbfe9b3e047f38741              ; double -0.80320753148064494
	.quad	0x3fe30ff7fce17035              ; double 0.59569930449243336
	.quad	0xbfe7b5df226aafb0              ; double -0.74095112535495922
	.quad	0xbfe57d69348cec9f              ; double -0.67155895484701833
	.quad	0x3fdb5d1009e15cc0              ; double 0.42755509343028208
	.quad	0x3feced7af43cc773              ; double 0.90398929312344334
	.quad	0x3ff0000000000000              ; double 1
	.quad	0x0000000000000000              ; double 0
	.quad	0xbfef6297cff75cb0              ; double -0.98078528040323043
	.quad	0xbfc8f8b83c69a60a              ; double -0.19509032201612825
	.quad	0x3fb917a6bc29b42c              ; double 0.098017140329560603
	.quad	0xbfefd88da3d12526              ; double -0.99518472667219693
	.quad	0xbfd294062ed59f05              ; double -0.29028467725446233
	.quad	0x3fee9f4156c62dda              ; double 0.95694033573220882
	.quad	0x3feddb13b6ccc23d              ; double 0.93299279883473896
	.quad	0xbfd7088530fa459e              ; double -0.35989503653498811
	.quad	0xbfef8764fa714ba9              ; double -0.98527764238894122
	.quad	0x3fc5e214448b3fc6              ; double 0.17096188876030122
	.quad	0xbfd111d262b1f677              ; double -0.26671275747489837
	.quad	0xbfeed740e7684963              ; double -0.96377606579543984
	.quad	0x3fb2d52092ce19f6              ; double 0.073564563599667426
	.quad	0x3fefe9cdad01883a              ; double 0.99729045667869021
	.quad	0x3fe7b5df226aafb0              ; double 0.74095112535495922
	.quad	0xbfe57d69348cec9f              ; double -0.67155895484701833
	.quad	0xbfeb728345196e3e              ; double -0.85772861000027212
	.quad	0x3fe073879922ffed              ; double 0.51410274419322166
	.quad	0xbfe30ff7fce17035              ; double -0.59569930449243336
	.quad	0xbfe9b3e047f38741              ; double -0.80320753148064494
	.quad	0x3fdb5d1009e15cc0              ; double 0.42755509343028208
	;; [unrolled: 8-line block ×3, first 2 shown]
	.quad	0x3fe610b7551d2cde              ; double 0.68954054473706683
	.size	_ZL2D3, 4096

	.type	__hip_cuid_a8bf97da3eefcf8c,@object ; @__hip_cuid_a8bf97da3eefcf8c
	.section	.bss,"aw",@nobits
	.globl	__hip_cuid_a8bf97da3eefcf8c
__hip_cuid_a8bf97da3eefcf8c:
	.byte	0                               ; 0x0
	.size	__hip_cuid_a8bf97da3eefcf8c, 1

	.ident	"AMD clang version 22.0.0git (https://github.com/RadeonOpenCompute/llvm-project roc-7.2.4 26084 f58b06dce1f9c15707c5f808fd002e18c2accf7e)"
	.section	".note.GNU-stack","",@progbits
	.addrsig
	.addrsig_sym __hip_cuid_a8bf97da3eefcf8c
	.amdgpu_metadata
---
amdhsa.kernels:
  - .args:
      - .address_space:  global
        .offset:         0
        .size:           8
        .value_kind:     global_buffer
      - .address_space:  global
        .offset:         8
        .size:           8
        .value_kind:     global_buffer
    .group_segment_fixed_size: 16384
    .kernarg_segment_align: 8
    .kernarg_segment_size: 16
    .language:       OpenCL C
    .language_version:
      - 2
      - 0
    .max_flat_workgroup_size: 1024
    .name:           _Z30ker_zmddft_fwd_256x256x256_cu0PKdPd
    .private_segment_fixed_size: 68
    .sgpr_count:     24
    .sgpr_spill_count: 0
    .symbol:         _Z30ker_zmddft_fwd_256x256x256_cu0PKdPd.kd
    .uniform_work_group_size: 1
    .uses_dynamic_stack: false
    .vgpr_count:     64
    .vgpr_spill_count: 24
    .wavefront_size: 64
  - .args:
      - .address_space:  global
        .offset:         0
        .size:           8
        .value_kind:     global_buffer
      - .address_space:  global
        .offset:         8
        .size:           8
        .value_kind:     global_buffer
    .group_segment_fixed_size: 16384
    .kernarg_segment_align: 8
    .kernarg_segment_size: 16
    .language:       OpenCL C
    .language_version:
      - 2
      - 0
    .max_flat_workgroup_size: 1024
    .name:           _Z30ker_zmddft_fwd_256x256x256_cu1PKdPd
    .private_segment_fixed_size: 68
    .sgpr_count:     24
    .sgpr_spill_count: 0
    .symbol:         _Z30ker_zmddft_fwd_256x256x256_cu1PKdPd.kd
    .uniform_work_group_size: 1
    .uses_dynamic_stack: false
    .vgpr_count:     64
    .vgpr_spill_count: 24
    .wavefront_size: 64
  - .args:
      - .address_space:  global
        .offset:         0
        .size:           8
        .value_kind:     global_buffer
      - .address_space:  global
        .offset:         8
        .size:           8
        .value_kind:     global_buffer
    .group_segment_fixed_size: 16384
    .kernarg_segment_align: 8
    .kernarg_segment_size: 16
    .language:       OpenCL C
    .language_version:
      - 2
      - 0
    .max_flat_workgroup_size: 1024
    .name:           _Z30ker_zmddft_fwd_256x256x256_cu2PKdPd
    .private_segment_fixed_size: 68
    .sgpr_count:     24
    .sgpr_spill_count: 0
    .symbol:         _Z30ker_zmddft_fwd_256x256x256_cu2PKdPd.kd
    .uniform_work_group_size: 1
    .uses_dynamic_stack: false
    .vgpr_count:     64
    .vgpr_spill_count: 24
    .wavefront_size: 64
amdhsa.target:   amdgcn-amd-amdhsa--gfx906
amdhsa.version:
  - 1
  - 2
...

	.end_amdgpu_metadata
